;; amdgpu-corpus repo=ROCm/rocFFT kind=compiled arch=gfx950 opt=O3
	.text
	.amdgcn_target "amdgcn-amd-amdhsa--gfx950"
	.amdhsa_code_object_version 6
	.protected	fft_rtc_fwd_len546_factors_13_3_7_2_wgs_117_tpt_39_halfLds_sp_op_CI_CI_unitstride_sbrr_C2R_dirReg ; -- Begin function fft_rtc_fwd_len546_factors_13_3_7_2_wgs_117_tpt_39_halfLds_sp_op_CI_CI_unitstride_sbrr_C2R_dirReg
	.globl	fft_rtc_fwd_len546_factors_13_3_7_2_wgs_117_tpt_39_halfLds_sp_op_CI_CI_unitstride_sbrr_C2R_dirReg
	.p2align	8
	.type	fft_rtc_fwd_len546_factors_13_3_7_2_wgs_117_tpt_39_halfLds_sp_op_CI_CI_unitstride_sbrr_C2R_dirReg,@function
fft_rtc_fwd_len546_factors_13_3_7_2_wgs_117_tpt_39_halfLds_sp_op_CI_CI_unitstride_sbrr_C2R_dirReg: ; @fft_rtc_fwd_len546_factors_13_3_7_2_wgs_117_tpt_39_halfLds_sp_op_CI_CI_unitstride_sbrr_C2R_dirReg
; %bb.0:
	s_load_dwordx4 s[4:7], s[0:1], 0x58
	s_load_dwordx4 s[8:11], s[0:1], 0x0
	;; [unrolled: 1-line block ×3, first 2 shown]
	v_mul_u32_u24_e32 v1, 0x691, v0
	v_lshrrev_b32_e32 v2, 16, v1
	v_mad_u64_u32 v[4:5], s[2:3], s2, 3, v[2:3]
	v_mov_b32_e32 v6, 0
	v_mov_b32_e32 v5, v6
	s_waitcnt lgkmcnt(0)
	v_cmp_lt_u64_e64 s[2:3], s[10:11], 2
	v_mov_b64_e32 v[2:3], 0
	s_and_b64 vcc, exec, s[2:3]
	v_mov_b64_e32 v[26:27], v[2:3]
	v_mov_b64_e32 v[28:29], v[4:5]
	s_cbranch_vccnz .LBB0_8
; %bb.1:
	s_load_dwordx2 s[2:3], s[0:1], 0x10
	s_add_u32 s16, s14, 8
	s_addc_u32 s17, s15, 0
	s_add_u32 s18, s12, 8
	s_addc_u32 s19, s13, 0
	s_waitcnt lgkmcnt(0)
	s_add_u32 s20, s2, 8
	v_mov_b64_e32 v[2:3], 0
	s_addc_u32 s21, s3, 0
	s_mov_b64 s[22:23], 1
	v_mov_b64_e32 v[26:27], v[2:3]
	v_mov_b64_e32 v[8:9], v[4:5]
.LBB0_2:                                ; =>This Inner Loop Header: Depth=1
	s_load_dwordx2 s[24:25], s[20:21], 0x0
                                        ; implicit-def: $vgpr28_vgpr29
	s_waitcnt lgkmcnt(0)
	v_or_b32_e32 v7, s25, v9
	v_cmp_ne_u64_e32 vcc, 0, v[6:7]
	s_and_saveexec_b64 s[2:3], vcc
	s_xor_b64 s[26:27], exec, s[2:3]
	s_cbranch_execz .LBB0_4
; %bb.3:                                ;   in Loop: Header=BB0_2 Depth=1
	v_cvt_f32_u32_e32 v1, s24
	v_cvt_f32_u32_e32 v5, s25
	s_sub_u32 s2, 0, s24
	s_subb_u32 s3, 0, s25
	v_fmac_f32_e32 v1, 0x4f800000, v5
	v_rcp_f32_e32 v1, v1
	s_nop 0
	v_mul_f32_e32 v1, 0x5f7ffffc, v1
	v_mul_f32_e32 v5, 0x2f800000, v1
	v_trunc_f32_e32 v5, v5
	v_fmac_f32_e32 v1, 0xcf800000, v5
	v_cvt_u32_f32_e32 v5, v5
	v_cvt_u32_f32_e32 v1, v1
	v_mul_lo_u32 v7, s2, v5
	v_mul_hi_u32 v10, s2, v1
	v_mul_lo_u32 v11, s3, v1
	v_add_u32_e32 v7, v10, v7
	v_mul_lo_u32 v14, s2, v1
	v_add_u32_e32 v7, v7, v11
	v_mul_hi_u32 v10, v1, v14
	v_mul_hi_u32 v13, v1, v7
	v_mul_lo_u32 v12, v1, v7
	v_mov_b32_e32 v11, v6
	v_lshl_add_u64 v[10:11], v[10:11], 0, v[12:13]
	v_mul_hi_u32 v13, v5, v14
	v_mul_lo_u32 v14, v5, v14
	v_add_co_u32_e32 v10, vcc, v10, v14
	v_mul_hi_u32 v12, v5, v7
	s_nop 0
	v_addc_co_u32_e32 v10, vcc, v11, v13, vcc
	v_mov_b32_e32 v11, v6
	s_nop 0
	v_addc_co_u32_e32 v13, vcc, 0, v12, vcc
	v_mul_lo_u32 v12, v5, v7
	v_lshl_add_u64 v[10:11], v[10:11], 0, v[12:13]
	v_add_co_u32_e32 v1, vcc, v1, v10
	v_mul_hi_u32 v10, s2, v1
	s_nop 0
	v_addc_co_u32_e32 v5, vcc, v5, v11, vcc
	v_mul_lo_u32 v7, s2, v5
	v_add_u32_e32 v7, v10, v7
	v_mul_lo_u32 v10, s3, v1
	v_add_u32_e32 v7, v7, v10
	v_mul_lo_u32 v12, s2, v1
	v_mul_hi_u32 v15, v5, v12
	v_mul_lo_u32 v16, v5, v12
	v_mul_hi_u32 v11, v1, v7
	;; [unrolled: 2-line block ×3, first 2 shown]
	v_mov_b32_e32 v13, v6
	v_lshl_add_u64 v[10:11], v[12:13], 0, v[10:11]
	v_add_co_u32_e32 v10, vcc, v10, v16
	v_mul_hi_u32 v14, v5, v7
	s_nop 0
	v_addc_co_u32_e32 v10, vcc, v11, v15, vcc
	v_mul_lo_u32 v12, v5, v7
	s_nop 0
	v_addc_co_u32_e32 v13, vcc, 0, v14, vcc
	v_mov_b32_e32 v11, v6
	v_lshl_add_u64 v[10:11], v[10:11], 0, v[12:13]
	v_add_co_u32_e32 v1, vcc, v1, v10
	v_mul_hi_u32 v12, v8, v1
	s_nop 0
	v_addc_co_u32_e32 v5, vcc, v5, v11, vcc
	v_mad_u64_u32 v[10:11], s[2:3], v8, v5, 0
	v_mov_b32_e32 v13, v6
	v_lshl_add_u64 v[10:11], v[12:13], 0, v[10:11]
	v_mad_u64_u32 v[14:15], s[2:3], v9, v1, 0
	v_add_co_u32_e32 v1, vcc, v10, v14
	v_mad_u64_u32 v[12:13], s[2:3], v9, v5, 0
	s_nop 0
	v_addc_co_u32_e32 v10, vcc, v11, v15, vcc
	v_mov_b32_e32 v11, v6
	s_nop 0
	v_addc_co_u32_e32 v13, vcc, 0, v13, vcc
	v_lshl_add_u64 v[10:11], v[10:11], 0, v[12:13]
	v_mul_lo_u32 v1, s25, v10
	v_mul_lo_u32 v5, s24, v11
	v_mad_u64_u32 v[12:13], s[2:3], s24, v10, 0
	v_add3_u32 v1, v13, v5, v1
	v_sub_u32_e32 v5, v9, v1
	v_mov_b32_e32 v7, s25
	v_sub_co_u32_e32 v16, vcc, v8, v12
	v_lshl_add_u64 v[14:15], v[10:11], 0, 1
	s_nop 0
	v_subb_co_u32_e64 v5, s[2:3], v5, v7, vcc
	v_subrev_co_u32_e64 v7, s[2:3], s24, v16
	v_subb_co_u32_e32 v1, vcc, v9, v1, vcc
	s_nop 0
	v_subbrev_co_u32_e64 v5, s[2:3], 0, v5, s[2:3]
	v_cmp_le_u32_e64 s[2:3], s25, v5
	v_cmp_le_u32_e32 vcc, s25, v1
	s_nop 0
	v_cndmask_b32_e64 v12, 0, -1, s[2:3]
	v_cmp_le_u32_e64 s[2:3], s24, v7
	s_nop 1
	v_cndmask_b32_e64 v7, 0, -1, s[2:3]
	v_cmp_eq_u32_e64 s[2:3], s25, v5
	s_nop 1
	v_cndmask_b32_e64 v5, v12, v7, s[2:3]
	v_lshl_add_u64 v[12:13], v[10:11], 0, 2
	v_cmp_ne_u32_e64 s[2:3], 0, v5
	v_cndmask_b32_e64 v7, 0, -1, vcc
	v_cmp_le_u32_e32 vcc, s24, v16
	v_cndmask_b32_e64 v5, v15, v13, s[2:3]
	s_nop 0
	v_cndmask_b32_e64 v13, 0, -1, vcc
	v_cmp_eq_u32_e32 vcc, s25, v1
	s_nop 1
	v_cndmask_b32_e32 v1, v7, v13, vcc
	v_cmp_ne_u32_e32 vcc, 0, v1
	v_cndmask_b32_e64 v1, v14, v12, s[2:3]
	s_nop 0
	v_cndmask_b32_e32 v29, v11, v5, vcc
	v_cndmask_b32_e32 v28, v10, v1, vcc
.LBB0_4:                                ;   in Loop: Header=BB0_2 Depth=1
	s_andn2_saveexec_b64 s[2:3], s[26:27]
	s_cbranch_execz .LBB0_6
; %bb.5:                                ;   in Loop: Header=BB0_2 Depth=1
	v_cvt_f32_u32_e32 v1, s24
	s_sub_i32 s26, 0, s24
	v_mov_b32_e32 v29, v6
	v_rcp_iflag_f32_e32 v1, v1
	s_nop 0
	v_mul_f32_e32 v1, 0x4f7ffffe, v1
	v_cvt_u32_f32_e32 v1, v1
	v_mul_lo_u32 v5, s26, v1
	v_mul_hi_u32 v5, v1, v5
	v_add_u32_e32 v1, v1, v5
	v_mul_hi_u32 v1, v8, v1
	v_mul_lo_u32 v5, v1, s24
	v_sub_u32_e32 v5, v8, v5
	v_add_u32_e32 v7, 1, v1
	v_subrev_u32_e32 v10, s24, v5
	v_cmp_le_u32_e32 vcc, s24, v5
	s_nop 1
	v_cndmask_b32_e32 v5, v5, v10, vcc
	v_cndmask_b32_e32 v1, v1, v7, vcc
	v_add_u32_e32 v7, 1, v1
	v_cmp_le_u32_e32 vcc, s24, v5
	s_nop 1
	v_cndmask_b32_e32 v28, v1, v7, vcc
.LBB0_6:                                ;   in Loop: Header=BB0_2 Depth=1
	s_or_b64 exec, exec, s[2:3]
	v_mad_u64_u32 v[10:11], s[2:3], v28, s24, 0
	s_load_dwordx2 s[2:3], s[18:19], 0x0
	s_add_u32 s22, s22, 1
	v_mul_lo_u32 v1, v29, s24
	v_mul_lo_u32 v5, v28, s25
	s_load_dwordx2 s[24:25], s[16:17], 0x0
	s_addc_u32 s23, s23, 0
	v_add3_u32 v1, v11, v5, v1
	v_sub_co_u32_e32 v5, vcc, v8, v10
	s_add_u32 s16, s16, 8
	s_nop 0
	v_subb_co_u32_e32 v1, vcc, v9, v1, vcc
	s_addc_u32 s17, s17, 0
	s_waitcnt lgkmcnt(0)
	v_mul_lo_u32 v7, s2, v1
	v_mul_lo_u32 v8, s3, v5
	v_mad_u64_u32 v[2:3], s[2:3], s2, v5, v[2:3]
	s_add_u32 s18, s18, 8
	v_add3_u32 v3, v8, v3, v7
	s_addc_u32 s19, s19, 0
	v_mov_b64_e32 v[8:9], s[10:11]
	v_mul_lo_u32 v1, s24, v1
	v_mul_lo_u32 v7, s25, v5
	v_mad_u64_u32 v[26:27], s[2:3], s24, v5, v[26:27]
	s_add_u32 s20, s20, 8
	v_cmp_ge_u64_e32 vcc, s[22:23], v[8:9]
	v_add3_u32 v27, v7, v27, v1
	s_addc_u32 s21, s21, 0
	s_cbranch_vccnz .LBB0_8
; %bb.7:                                ;   in Loop: Header=BB0_2 Depth=1
	v_mov_b64_e32 v[8:9], v[28:29]
	s_branch .LBB0_2
.LBB0_8:
	s_load_dwordx2 s[18:19], s[0:1], 0x28
	s_mov_b32 s0, 0xaaaaaaab
	v_mul_hi_u32 v1, v4, s0
	s_lshl_b64 s[16:17], s[10:11], 3
	v_lshrrev_b32_e32 v1, 1, v1
	s_add_u32 s2, s14, s16
	v_lshl_add_u32 v1, v1, 1, v1
	s_addc_u32 s3, s15, s17
	v_sub_u32_e32 v1, v4, v1
	s_waitcnt lgkmcnt(0)
	v_cmp_gt_u64_e64 s[0:1], s[18:19], v[28:29]
	v_cmp_le_u64_e32 vcc, s[18:19], v[28:29]
                                        ; implicit-def: $vgpr30
                                        ; implicit-def: $vgpr32_vgpr33
	s_and_saveexec_b64 s[10:11], vcc
	s_xor_b64 s[10:11], exec, s[10:11]
; %bb.9:
	s_mov_b32 s14, 0x6906907
	v_mul_hi_u32 v2, v0, s14
	v_mul_u32_u24_e32 v2, 39, v2
	v_sub_u32_e32 v30, v0, v2
	v_mov_b32_e32 v31, 0
	v_mov_b64_e32 v[32:33], v[30:31]
                                        ; implicit-def: $vgpr0
                                        ; implicit-def: $vgpr2_vgpr3
; %bb.10:
	s_or_saveexec_b64 s[10:11], s[10:11]
	s_load_dwordx2 s[2:3], s[2:3], 0x0
	v_mul_u32_u24_e32 v128, 0x223, v1
	v_lshlrev_b32_e32 v133, 3, v128
	s_xor_b64 exec, exec, s[10:11]
	s_cbranch_execz .LBB0_14
; %bb.11:
	s_add_u32 s12, s12, s16
	s_addc_u32 s13, s13, s17
	s_load_dwordx2 s[12:13], s[12:13], 0x0
	s_mov_b32 s14, 0x6906907
	v_mov_b32_e32 v31, 0
	s_waitcnt lgkmcnt(0)
	v_mul_lo_u32 v1, s13, v28
	v_mul_lo_u32 v6, s12, v29
	v_mad_u64_u32 v[4:5], s[12:13], s12, v28, 0
	v_add3_u32 v5, v5, v6, v1
	v_mul_hi_u32 v1, v0, s14
	v_mul_u32_u24_e32 v1, 39, v1
	v_sub_u32_e32 v30, v0, v1
	v_lshl_add_u64 v[0:1], v[4:5], 3, s[4:5]
	v_lshl_add_u64 v[0:1], v[2:3], 3, v[0:1]
	v_lshlrev_b32_e32 v2, 3, v30
	v_mov_b32_e32 v3, v31
	v_lshl_add_u64 v[4:5], v[0:1], 0, v[2:3]
	global_load_dwordx2 v[6:7], v[4:5], off
	global_load_dwordx2 v[8:9], v[4:5], off offset:312
	global_load_dwordx2 v[10:11], v[4:5], off offset:624
	;; [unrolled: 1-line block ×13, first 2 shown]
	v_add3_u32 v2, 0, v133, v2
	v_cmp_eq_u32_e32 vcc, 38, v30
	v_add_u32_e32 v3, 0x400, v2
	v_add_u32_e32 v4, 0x800, v2
	s_waitcnt vmcnt(12)
	ds_write2_b64 v2, v[6:7], v[8:9] offset1:39
	s_waitcnt vmcnt(10)
	ds_write2_b64 v2, v[10:11], v[12:13] offset0:78 offset1:117
	s_waitcnt vmcnt(8)
	ds_write2_b64 v2, v[14:15], v[16:17] offset0:156 offset1:195
	;; [unrolled: 2-line block ×6, first 2 shown]
	v_mov_b64_e32 v[32:33], v[30:31]
	s_and_saveexec_b64 s[4:5], vcc
	s_cbranch_execz .LBB0_13
; %bb.12:
	v_add_co_u32_e32 v0, vcc, 0x1000, v0
	v_mov_b32_e32 v30, 38
	s_nop 0
	v_addc_co_u32_e32 v1, vcc, 0, v1, vcc
	global_load_dwordx2 v[0:1], v[0:1], off offset:272
	v_mov_b64_e32 v[32:33], 38
	s_waitcnt vmcnt(0)
	ds_write_b64 v2, v[0:1] offset:4064
.LBB0_13:
	s_or_b64 exec, exec, s[4:5]
.LBB0_14:
	s_or_b64 exec, exec, s[10:11]
	v_lshl_add_u32 v129, v128, 3, 0
	v_lshlrev_b32_e32 v0, 3, v30
	v_add_u32_e32 v130, v129, v0
	s_waitcnt lgkmcnt(0)
	s_barrier
	v_sub_u32_e32 v2, v129, v0
	ds_read_b32 v1, v130
	ds_read_b32 v3, v2 offset:4368
	s_add_u32 s4, s8, 0x10a8
	s_addc_u32 s5, s9, 0
	v_cmp_ne_u32_e32 vcc, 0, v30
	s_waitcnt lgkmcnt(0)
	v_add_f32_e32 v0, v3, v1
	v_sub_f32_e32 v1, v1, v3
	s_and_saveexec_b64 s[10:11], vcc
	s_xor_b64 s[10:11], exec, s[10:11]
	s_cbranch_execz .LBB0_16
; %bb.15:
	v_lshl_add_u64 v[4:5], v[32:33], 3, s[4:5]
	global_load_dwordx2 v[4:5], v[4:5], off
	ds_read_b32 v3, v2 offset:4372
	ds_read_b32 v9, v130 offset:4
	v_mov_b32_e32 v8, v1
	v_mov_b32_e32 v7, v1
	s_waitcnt lgkmcnt(0)
	v_add_f32_e32 v6, v3, v9
	v_sub_f32_e32 v3, v9, v3
	v_mov_b32_e32 v9, v6
	v_mov_b32_e32 v1, v3
	s_waitcnt vmcnt(0)
	v_pk_mul_f32 v[10:11], v[8:9], v[4:5] op_sel:[0,1]
	v_pk_fma_f32 v[8:9], v[8:9], v[4:5], v[0:1] op_sel:[0,1,0]
	v_mov_b32_e32 v1, v11
	v_mov_b32_e32 v11, v3
	v_pk_fma_f32 v[12:13], v[4:5], v[6:7], v[8:9] neg_lo:[1,0,0] neg_hi:[1,0,0]
	v_pk_fma_f32 v[8:9], v[4:5], v[6:7], v[8:9] op_sel_hi:[0,1,1]
	v_pk_add_f32 v[0:1], v[0:1], v[10:11] neg_lo:[0,1] neg_hi:[0,1]
	v_mov_b32_e32 v13, v9
	v_pk_fma_f32 v[0:1], v[4:5], v[6:7], v[0:1] op_sel_hi:[0,1,1]
	ds_write_b64 v130, v[12:13]
	ds_write_b64 v2, v[0:1] offset:4368
                                        ; implicit-def: $vgpr0
.LBB0_16:
	s_andn2_saveexec_b64 s[10:11], s[10:11]
	s_cbranch_execz .LBB0_18
; %bb.17:
	ds_write_b64 v130, v[0:1]
	ds_read_b64 v[0:1], v129 offset:2184
	s_mov_b32 s12, 2.0
	s_mov_b32 s13, -2.0
	s_waitcnt lgkmcnt(0)
	v_pk_mul_f32 v[0:1], v[0:1], s[12:13]
	ds_write_b64 v129, v[0:1] offset:2184
.LBB0_18:
	s_or_b64 exec, exec, s[10:11]
	v_mov_b32_e32 v31, 0
	v_lshl_add_u64 v[0:1], v[30:31], 3, s[4:5]
	global_load_dwordx2 v[4:5], v[0:1], off offset:312
	global_load_dwordx2 v[6:7], v[0:1], off offset:624
	;; [unrolled: 1-line block ×4, first 2 shown]
	ds_read_b64 v[12:13], v2 offset:4056
	ds_read_b64 v[14:15], v130 offset:312
	global_load_dwordx2 v[16:17], v[0:1], off offset:1560
	v_lshl_add_u32 v132, v30, 3, 0
	v_add_u32_e32 v131, v132, v133
	v_add_u32_e32 v134, 0x800, v131
	s_waitcnt lgkmcnt(0)
	v_pk_add_f32 v[18:19], v[14:15], v[12:13]
	v_pk_add_f32 v[12:13], v[14:15], v[12:13] neg_lo:[0,1] neg_hi:[0,1]
	v_mov_b32_e32 v14, v19
	v_mov_b32_e32 v15, v12
	;; [unrolled: 1-line block ×3, first 2 shown]
	s_mov_b32 s30, 0x3f62ad3f
	s_mov_b32 s42, 0xbeedf032
	;; [unrolled: 1-line block ×19, first 2 shown]
	s_movk_i32 s18, 0x68
	v_mad_u32_u24 v135, v30, s18, 0
	s_mov_b32 s24, s5
	s_mov_b32 s25, s4
	;; [unrolled: 1-line block ×14, first 2 shown]
	v_cmp_gt_u32_e32 vcc, 3, v30
	s_waitcnt vmcnt(4)
	v_pk_mul_f32 v[20:21], v[14:15], v[4:5] op_sel:[0,1]
	s_nop 0
	v_pk_add_f32 v[22:23], v[18:19], v[20:21] op_sel:[0,1] op_sel_hi:[1,0]
	v_mov_b32_e32 v19, v20
	v_mov_b32_e32 v12, v21
	v_pk_fma_f32 v[20:21], v[4:5], v[14:15], v[22:23] neg_lo:[1,0,0] neg_hi:[1,0,0]
	v_pk_fma_f32 v[22:23], v[4:5], v[14:15], v[22:23] op_sel_hi:[0,1,1]
	v_pk_add_f32 v[12:13], v[18:19], v[12:13] neg_lo:[0,1] neg_hi:[0,1]
	v_mov_b32_e32 v21, v23
	v_pk_fma_f32 v[4:5], v[4:5], v[14:15], v[12:13] op_sel_hi:[0,1,1]
	ds_write_b64 v130, v[20:21] offset:312
	ds_write_b64 v2, v[4:5] offset:4056
	ds_read_b64 v[4:5], v2 offset:3744
	ds_read_b64 v[12:13], v130 offset:624
	global_load_dwordx2 v[0:1], v[0:1], off offset:1872
	s_waitcnt lgkmcnt(0)
	v_pk_add_f32 v[14:15], v[12:13], v[4:5]
	v_pk_add_f32 v[4:5], v[12:13], v[4:5] neg_lo:[0,1] neg_hi:[0,1]
	v_mov_b32_e32 v12, v15
	v_mov_b32_e32 v13, v4
	v_mov_b32_e32 v15, v5
	s_waitcnt vmcnt(4)
	v_pk_mul_f32 v[18:19], v[12:13], v[6:7] op_sel:[0,1]
	s_nop 0
	v_pk_add_f32 v[20:21], v[14:15], v[18:19] op_sel:[0,1] op_sel_hi:[1,0]
	v_mov_b32_e32 v15, v18
	v_mov_b32_e32 v4, v19
	v_pk_fma_f32 v[18:19], v[6:7], v[12:13], v[20:21] neg_lo:[1,0,0] neg_hi:[1,0,0]
	v_pk_fma_f32 v[20:21], v[6:7], v[12:13], v[20:21] op_sel_hi:[0,1,1]
	v_pk_add_f32 v[4:5], v[14:15], v[4:5] neg_lo:[0,1] neg_hi:[0,1]
	v_mov_b32_e32 v19, v21
	v_pk_fma_f32 v[4:5], v[6:7], v[12:13], v[4:5] op_sel_hi:[0,1,1]
	ds_write_b64 v130, v[18:19] offset:624
	ds_write_b64 v2, v[4:5] offset:3744
	ds_read_b64 v[4:5], v2 offset:3432
	ds_read_b64 v[6:7], v130 offset:936
	s_waitcnt lgkmcnt(0)
	v_pk_add_f32 v[12:13], v[6:7], v[4:5]
	v_pk_add_f32 v[4:5], v[6:7], v[4:5] neg_lo:[0,1] neg_hi:[0,1]
	v_mov_b32_e32 v6, v13
	v_mov_b32_e32 v7, v4
	v_mov_b32_e32 v13, v5
	s_waitcnt vmcnt(3)
	v_pk_mul_f32 v[14:15], v[6:7], v[8:9] op_sel:[0,1]
	s_nop 0
	v_pk_add_f32 v[18:19], v[12:13], v[14:15] op_sel:[0,1] op_sel_hi:[1,0]
	v_mov_b32_e32 v13, v14
	v_mov_b32_e32 v4, v15
	v_pk_fma_f32 v[14:15], v[8:9], v[6:7], v[18:19] neg_lo:[1,0,0] neg_hi:[1,0,0]
	v_pk_fma_f32 v[18:19], v[8:9], v[6:7], v[18:19] op_sel_hi:[0,1,1]
	v_pk_add_f32 v[4:5], v[12:13], v[4:5] neg_lo:[0,1] neg_hi:[0,1]
	v_mov_b32_e32 v15, v19
	v_pk_fma_f32 v[4:5], v[8:9], v[6:7], v[4:5] op_sel_hi:[0,1,1]
	ds_write_b64 v130, v[14:15] offset:936
	ds_write_b64 v2, v[4:5] offset:3432
	ds_read_b64 v[4:5], v2 offset:3120
	ds_read_b64 v[6:7], v130 offset:1248
	;; [unrolled: 21-line block ×4, first 2 shown]
	s_waitcnt lgkmcnt(0)
	v_pk_add_f32 v[8:9], v[6:7], v[4:5]
	v_pk_add_f32 v[4:5], v[6:7], v[4:5] neg_lo:[0,1] neg_hi:[0,1]
	v_mov_b32_e32 v6, v9
	v_mov_b32_e32 v7, v4
	;; [unrolled: 1-line block ×3, first 2 shown]
	s_waitcnt vmcnt(0)
	v_pk_mul_f32 v[10:11], v[6:7], v[0:1] op_sel:[0,1]
	s_nop 0
	v_pk_add_f32 v[12:13], v[8:9], v[10:11] op_sel:[0,1] op_sel_hi:[1,0]
	v_mov_b32_e32 v9, v10
	v_mov_b32_e32 v4, v11
	v_pk_fma_f32 v[10:11], v[0:1], v[6:7], v[12:13] neg_lo:[1,0,0] neg_hi:[1,0,0]
	v_pk_fma_f32 v[12:13], v[0:1], v[6:7], v[12:13] op_sel_hi:[0,1,1]
	v_pk_add_f32 v[4:5], v[8:9], v[4:5] neg_lo:[0,1] neg_hi:[0,1]
	v_mov_b32_e32 v11, v13
	v_pk_fma_f32 v[0:1], v[0:1], v[6:7], v[4:5] op_sel_hi:[0,1,1]
	ds_write_b64 v130, v[10:11] offset:1872
	ds_write_b64 v2, v[0:1] offset:2496
	s_waitcnt lgkmcnt(0)
	s_barrier
	s_barrier
	ds_read2_b64 v[4:7], v131 offset0:81 offset1:84
	ds_read2_b64 v[36:39], v131 offset0:123 offset1:126
	;; [unrolled: 1-line block ×10, first 2 shown]
	ds_read_b64 v[18:19], v130
	ds_read_b64 v[20:21], v131 offset:4344
	s_waitcnt lgkmcnt(4)
	v_pk_add_f32 v[8:9], v[64:65], v[10:11]
	v_pk_add_f32 v[22:23], v[10:11], v[64:65] neg_lo:[0,1] neg_hi:[0,1]
	s_waitcnt lgkmcnt(2)
	v_pk_add_f32 v[24:25], v[0:1], v[4:5]
	s_waitcnt lgkmcnt(1)
	v_pk_add_f32 v[34:35], v[18:19], v[2:3]
	v_pk_add_f32 v[24:25], v[24:25], v[36:37]
	;; [unrolled: 1-line block ×16, first 2 shown]
	v_pk_add_f32 v[50:51], v[38:39], v[66:67] neg_lo:[0,1] neg_hi:[0,1]
	v_pk_add_f32 v[38:39], v[10:11], v[64:65]
	v_pk_add_f32 v[10:11], v[24:25], v[70:71]
	;; [unrolled: 1-line block ×4, first 2 shown]
	v_pk_add_f32 v[64:65], v[12:13], v[62:63] neg_lo:[0,1] neg_hi:[0,1]
	v_pk_add_f32 v[10:11], v[60:61], v[52:53]
	v_pk_add_f32 v[24:25], v[52:53], v[60:61] neg_lo:[0,1] neg_hi:[0,1]
	v_pk_add_f32 v[60:61], v[54:55], v[16:17]
	;; [unrolled: 2-line block ×3, first 2 shown]
	ds_read2_b64 v[52:55], v134 offset0:245 offset1:248
	v_pk_add_f32 v[34:35], v[14:15], v[68:69] neg_lo:[0,1] neg_hi:[0,1]
	ds_read2_b64 v[66:69], v134 offset0:203 offset1:206
	v_pk_add_f32 v[82:83], v[70:71], v[44:45]
	v_pk_add_f32 v[88:89], v[44:45], v[70:71] neg_lo:[0,1] neg_hi:[0,1]
	s_waitcnt lgkmcnt(1)
	v_pk_add_f32 v[70:71], v[2:3], v[54:55] neg_lo:[0,1] neg_hi:[0,1]
	v_pk_add_f32 v[14:15], v[52:53], v[36:37]
	s_waitcnt lgkmcnt(0)
	v_pk_add_f32 v[38:39], v[38:39], v[66:67]
	v_pk_add_f32 v[40:41], v[36:37], v[52:53] neg_lo:[0,1] neg_hi:[0,1]
	v_pk_add_f32 v[16:17], v[66:67], v[42:43]
	v_pk_add_f32 v[36:37], v[42:43], v[66:67] neg_lo:[0,1] neg_hi:[0,1]
	v_pk_add_f32 v[42:43], v[38:39], v[52:53]
	v_pk_add_f32 v[38:39], v[48:49], v[68:69]
	;; [unrolled: 1-line block ×4, first 2 shown]
	v_pk_add_f32 v[90:91], v[6:7], v[68:69] neg_lo:[0,1] neg_hi:[0,1]
	v_pk_mul_f32 v[6:7], v[70:71], s[42:43] op_sel:[1,0] op_sel_hi:[0,0]
	v_pk_add_f32 v[66:67], v[38:39], v[54:55]
	v_pk_fma_f32 v[2:3], v[72:73], s[30:31], v[6:7] op_sel_hi:[1,0,1]
	v_pk_fma_f32 v[44:45], v[72:73], s[30:31], v[6:7] op_sel_hi:[1,0,1] neg_lo:[0,0,1] neg_hi:[0,0,1]
	v_pk_mul_f32 v[38:39], v[90:91], s[4:5] op_sel_hi:[1,0]
	v_pk_mul_f32 v[56:57], v[88:89], s[10:11] op_sel_hi:[1,0]
	v_pk_fma_f32 v[6:7], v[86:87], s[44:45], v[38:39] op_sel:[0,0,1] op_sel_hi:[1,0,0]
	v_pk_fma_f32 v[48:49], v[86:87], s[44:45], v[38:39] op_sel:[0,0,1] op_sel_hi:[1,0,0] neg_lo:[0,0,1] neg_hi:[0,0,1]
	v_mov_b32_e32 v39, v45
	v_mov_b32_e32 v45, v3
	v_pk_add_f32 v[44:45], v[18:19], v[44:45]
	v_mov_b32_e32 v3, v49
	v_mov_b32_e32 v49, v7
	v_pk_add_f32 v[52:53], v[48:49], v[44:45]
	v_pk_mul_f32 v[44:45], v[50:51], s[16:17] op_sel_hi:[1,0]
	v_pk_mul_f32 v[68:69], v[64:65], s[14:15] op_sel_hi:[1,0]
	v_pk_fma_f32 v[48:49], v[46:47], s[46:47], v[44:45] op_sel:[0,0,1] op_sel_hi:[1,0,0]
	v_pk_fma_f32 v[54:55], v[46:47], s[46:47], v[44:45] op_sel:[0,0,1] op_sel_hi:[1,0,0] neg_lo:[0,0,1] neg_hi:[0,0,1]
	v_pk_mul_f32 v[74:75], v[62:63], s[12:13] op_sel_hi:[1,0]
	v_mov_b32_e32 v45, v55
	v_mov_b32_e32 v55, v49
	v_pk_add_f32 v[54:55], v[54:55], v[52:53]
	v_pk_fma_f32 v[52:53], v[82:83], s[48:49], v[56:57] op_sel:[0,0,1] op_sel_hi:[1,0,0]
	v_pk_fma_f32 v[56:57], v[82:83], s[48:49], v[56:57] op_sel:[0,0,1] op_sel_hi:[1,0,0] neg_lo:[0,0,1] neg_hi:[0,0,1]
	v_add_u32_e32 v7, v135, v133
	v_mov_b32_e32 v49, v57
	v_mov_b32_e32 v57, v53
	v_pk_add_f32 v[56:57], v[56:57], v[54:55]
	v_pk_fma_f32 v[54:55], v[58:59], s[50:51], v[68:69] op_sel:[0,0,1] op_sel_hi:[1,0,0]
	v_pk_fma_f32 v[68:69], v[58:59], s[50:51], v[68:69] op_sel:[0,0,1] op_sel_hi:[1,0,0] neg_lo:[0,0,1] neg_hi:[0,0,1]
	s_nop 0
	v_mov_b32_e32 v53, v69
	v_mov_b32_e32 v69, v55
	v_pk_add_f32 v[68:69], v[68:69], v[56:57]
	v_pk_fma_f32 v[56:57], v[60:61], s[52:53], v[74:75] op_sel:[0,0,1] op_sel_hi:[1,0,0]
	v_pk_fma_f32 v[74:75], v[60:61], s[52:53], v[74:75] op_sel:[0,0,1] op_sel_hi:[1,0,0] neg_lo:[0,0,1] neg_hi:[0,0,1]
	s_barrier
	v_mov_b32_e32 v55, v75
	v_mov_b32_e32 v75, v57
	v_pk_add_f32 v[68:69], v[74:75], v[68:69]
	ds_write2_b64 v7, v[66:67], v[68:69] offset1:1
	v_mov_b32_e32 v69, v73
	v_mov_b32_e32 v73, v70
	;; [unrolled: 1-line block ×3, first 2 shown]
	v_pk_mul_f32 v[74:75], v[72:73], s[24:25]
	v_pk_mul_f32 v[142:143], v[90:91], s[18:19] op_sel_hi:[1,0]
	v_pk_fma_f32 v[76:77], v[70:71], s[4:5], v[74:75] op_sel:[1,0,0] op_sel_hi:[0,1,1] neg_lo:[1,0,0] neg_hi:[1,0,0]
	v_pk_fma_f32 v[66:67], v[68:69], s[4:5], v[74:75]
	v_pk_fma_f32 v[144:145], v[86:87], s[50:51], v[142:143] op_sel:[0,0,1] op_sel_hi:[1,0,0] neg_lo:[0,0,1] neg_hi:[0,0,1]
	v_mov_b32_e32 v77, v67
	v_pk_add_f32 v[80:81], v[18:19], v[76:77]
	v_pk_mul_f32 v[76:77], v[90:91], s[10:11] op_sel_hi:[1,0]
	v_pk_fma_f32 v[142:143], v[86:87], s[50:51], v[142:143] op_sel:[0,0,1] op_sel_hi:[1,0,0]
	v_pk_fma_f32 v[78:79], v[86:87], s[48:49], v[76:77] op_sel:[0,0,1] op_sel_hi:[1,0,0] neg_lo:[0,0,1] neg_hi:[0,0,1]
	v_pk_fma_f32 v[76:77], v[86:87], s[48:49], v[76:77] op_sel:[0,0,1] op_sel_hi:[1,0,0]
	v_mov_b32_e32 v84, v78
	v_mov_b32_e32 v85, v77
	v_pk_add_f32 v[84:85], v[84:85], v[80:81]
	v_pk_mul_f32 v[80:81], v[50:51], s[12:13] op_sel_hi:[1,0]
	v_mov_b32_e32 v146, v144
	v_pk_fma_f32 v[94:95], v[46:47], s[52:53], v[80:81] op_sel:[0,0,1] op_sel_hi:[1,0,0] neg_lo:[0,0,1] neg_hi:[0,0,1]
	v_pk_fma_f32 v[80:81], v[46:47], s[52:53], v[80:81] op_sel:[0,0,1] op_sel_hi:[1,0,0]
	v_mov_b32_e32 v92, v94
	v_mov_b32_e32 v93, v81
	v_pk_add_f32 v[92:93], v[92:93], v[84:85]
	v_pk_mul_f32 v[84:85], v[88:89], s[18:19] op_sel_hi:[1,0]
	v_mov_b32_e32 v147, v143
	v_pk_fma_f32 v[98:99], v[82:83], s[50:51], v[84:85] op_sel:[0,0,1] op_sel_hi:[1,0,0] neg_lo:[0,0,1] neg_hi:[0,0,1]
	v_pk_fma_f32 v[84:85], v[82:83], s[50:51], v[84:85] op_sel:[0,0,1] op_sel_hi:[1,0,0]
	v_mov_b32_e32 v96, v98
	v_mov_b32_e32 v97, v85
	v_pk_add_f32 v[96:97], v[96:97], v[92:93]
	v_pk_mul_f32 v[92:93], v[64:65], s[20:21] op_sel_hi:[1,0]
	v_pk_mul_f32 v[168:169], v[90:91], s[20:21] op_sel_hi:[1,0]
	v_pk_fma_f32 v[100:101], v[58:59], s[46:47], v[92:93] op_sel:[0,0,1] op_sel_hi:[1,0,0] neg_lo:[0,0,1] neg_hi:[0,0,1]
	v_pk_fma_f32 v[92:93], v[58:59], s[46:47], v[92:93] op_sel:[0,0,1] op_sel_hi:[1,0,0]
	v_mov_b32_e32 v102, v100
	v_mov_b32_e32 v103, v93
	v_pk_add_f32 v[104:105], v[102:103], v[96:97]
	v_pk_mul_f32 v[96:97], v[62:63], s[22:23] op_sel_hi:[1,0]
	v_pk_fma_f32 v[170:171], v[86:87], s[46:47], v[168:169] op_sel:[0,0,1] op_sel_hi:[1,0,0] neg_lo:[0,0,1] neg_hi:[0,0,1]
	v_pk_fma_f32 v[102:103], v[60:61], s[30:31], v[96:97] op_sel:[0,0,1] op_sel_hi:[1,0,0] neg_lo:[0,0,1] neg_hi:[0,0,1]
	v_pk_fma_f32 v[96:97], v[60:61], s[30:31], v[96:97] op_sel:[0,0,1] op_sel_hi:[1,0,0]
	v_mov_b32_e32 v106, v102
	v_mov_b32_e32 v107, v97
	v_pk_add_f32 v[136:137], v[106:107], v[104:105]
	v_pk_mul_f32 v[106:107], v[72:73], s[28:29]
	v_pk_fma_f32 v[168:169], v[86:87], s[46:47], v[168:169] op_sel:[0,0,1] op_sel_hi:[1,0,0]
	v_pk_fma_f32 v[108:109], v[70:71], s[16:17], v[106:107] op_sel:[1,0,0] op_sel_hi:[0,1,1] neg_lo:[1,0,0] neg_hi:[1,0,0]
	v_pk_fma_f32 v[104:105], v[68:69], s[16:17], v[106:107]
	v_mov_b32_e32 v172, v170
	v_mov_b32_e32 v109, v105
	v_pk_add_f32 v[112:113], v[18:19], v[108:109]
	v_pk_mul_f32 v[108:109], v[90:91], s[12:13] op_sel_hi:[1,0]
	v_mov_b32_e32 v173, v169
	v_pk_fma_f32 v[110:111], v[86:87], s[52:53], v[108:109] op_sel:[0,0,1] op_sel_hi:[1,0,0] neg_lo:[0,0,1] neg_hi:[0,0,1]
	v_pk_fma_f32 v[108:109], v[86:87], s[52:53], v[108:109] op_sel:[0,0,1] op_sel_hi:[1,0,0]
	v_mov_b32_e32 v114, v110
	v_mov_b32_e32 v115, v109
	v_pk_add_f32 v[114:115], v[114:115], v[112:113]
	v_pk_mul_f32 v[112:113], v[50:51], s[26:27] op_sel_hi:[1,0]
	v_mov_b32_e32 v169, v171
	v_pk_fma_f32 v[118:119], v[46:47], s[48:49], v[112:113] op_sel:[0,0,1] op_sel_hi:[1,0,0] neg_lo:[0,0,1] neg_hi:[0,0,1]
	v_pk_fma_f32 v[112:113], v[46:47], s[48:49], v[112:113] op_sel:[0,0,1] op_sel_hi:[1,0,0]
	;; [unrolled: 7-line block ×5, first 2 shown]
	v_mov_b32_e32 v140, v126
	v_mov_b32_e32 v141, v121
	v_pk_add_f32 v[138:139], v[140:141], v[138:139]
	ds_write2_b64 v7, v[136:137], v[138:139] offset0:2 offset1:3
	v_pk_mul_f32 v[136:137], v[72:73], s[38:39]
	v_mov_b32_e32 v113, v119
	v_pk_fma_f32 v[138:139], v[70:71], s[10:11], v[136:137] op_sel:[1,0,0] op_sel_hi:[0,1,1] neg_lo:[1,0,0] neg_hi:[1,0,0]
	v_pk_fma_f32 v[140:141], v[68:69], s[10:11], v[136:137]
	v_mov_b32_e32 v81, v95
	v_mov_b32_e32 v139, v141
	v_pk_add_f32 v[138:139], v[18:19], v[138:139]
	v_mov_b32_e32 v115, v123
	v_pk_add_f32 v[138:139], v[146:147], v[138:139]
	v_pk_mul_f32 v[146:147], v[50:51], s[22:23] op_sel_hi:[1,0]
	v_mov_b32_e32 v85, v99
	v_pk_fma_f32 v[148:149], v[46:47], s[30:31], v[146:147] op_sel:[0,0,1] op_sel_hi:[1,0,0] neg_lo:[0,0,1] neg_hi:[0,0,1]
	v_pk_fma_f32 v[146:147], v[46:47], s[30:31], v[146:147] op_sel:[0,0,1] op_sel_hi:[1,0,0]
	v_mov_b32_e32 v150, v148
	v_mov_b32_e32 v151, v147
	v_pk_add_f32 v[138:139], v[150:151], v[138:139]
	v_pk_mul_f32 v[150:151], v[88:89], s[16:17] op_sel_hi:[1,0]
	v_mov_b32_e32 v147, v149
	v_pk_fma_f32 v[152:153], v[82:83], s[46:47], v[150:151] op_sel:[0,0,1] op_sel_hi:[1,0,0] neg_lo:[0,0,1] neg_hi:[0,0,1]
	v_pk_fma_f32 v[150:151], v[82:83], s[46:47], v[150:151] op_sel:[0,0,1] op_sel_hi:[1,0,0]
	v_mov_b32_e32 v154, v152
	;; [unrolled: 7-line block ×4, first 2 shown]
	v_mov_b32_e32 v163, v159
	v_pk_add_f32 v[138:139], v[162:163], v[138:139]
	v_pk_mul_f32 v[162:163], v[72:73], s[40:41]
	v_mov_b32_e32 v159, v161
	v_pk_fma_f32 v[164:165], v[70:71], s[14:15], v[162:163] op_sel:[1,0,0] op_sel_hi:[0,1,1] neg_lo:[1,0,0] neg_hi:[1,0,0]
	v_pk_fma_f32 v[166:167], v[68:69], s[14:15], v[162:163]
	v_mov_b32_e32 v117, v125
	v_mov_b32_e32 v165, v167
	v_pk_add_f32 v[164:165], v[18:19], v[164:165]
	v_mov_b32_e32 v93, v101
	v_pk_add_f32 v[164:165], v[172:173], v[164:165]
	v_pk_mul_f32 v[172:173], v[50:51], s[4:5] op_sel_hi:[1,0]
	v_pk_mul_f32 v[50:51], v[50:51], s[14:15] op_sel_hi:[1,0]
	v_pk_fma_f32 v[174:175], v[46:47], s[44:45], v[172:173] op_sel:[0,0,1] op_sel_hi:[1,0,0] neg_lo:[0,0,1] neg_hi:[0,0,1]
	v_pk_fma_f32 v[172:173], v[46:47], s[44:45], v[172:173] op_sel:[0,0,1] op_sel_hi:[1,0,0]
	v_mov_b32_e32 v176, v174
	v_mov_b32_e32 v177, v173
	v_pk_add_f32 v[164:165], v[176:177], v[164:165]
	v_pk_mul_f32 v[176:177], v[88:89], s[34:35] op_sel_hi:[1,0]
	v_mov_b32_e32 v173, v175
	v_pk_fma_f32 v[178:179], v[82:83], s[52:53], v[176:177] op_sel:[0,0,1] op_sel_hi:[1,0,0] neg_lo:[0,0,1] neg_hi:[0,0,1]
	v_pk_fma_f32 v[176:177], v[82:83], s[52:53], v[176:177] op_sel:[0,0,1] op_sel_hi:[1,0,0]
	v_mov_b32_e32 v180, v178
	v_mov_b32_e32 v181, v177
	v_pk_add_f32 v[164:165], v[180:181], v[164:165]
	v_pk_mul_f32 v[180:181], v[64:65], s[22:23] op_sel_hi:[1,0]
	v_pk_mul_f32 v[64:65], v[64:65], s[10:11] op_sel_hi:[1,0]
	v_pk_fma_f32 v[182:183], v[58:59], s[30:31], v[180:181] op_sel:[0,0,1] op_sel_hi:[1,0,0] neg_lo:[0,0,1] neg_hi:[0,0,1]
	v_pk_fma_f32 v[180:181], v[58:59], s[30:31], v[180:181] op_sel:[0,0,1] op_sel_hi:[1,0,0]
	v_mov_b32_e32 v184, v182
	v_mov_b32_e32 v185, v181
	v_pk_add_f32 v[164:165], v[184:185], v[164:165]
	v_pk_mul_f32 v[184:185], v[62:63], s[10:11] op_sel_hi:[1,0]
	v_pk_mul_f32 v[62:63], v[62:63], s[20:21] op_sel_hi:[1,0]
	v_pk_fma_f32 v[186:187], v[60:61], s[48:49], v[184:185] op_sel:[0,0,1] op_sel_hi:[1,0,0] neg_lo:[0,0,1] neg_hi:[0,0,1]
	v_pk_fma_f32 v[184:185], v[60:61], s[48:49], v[184:185] op_sel:[0,0,1] op_sel_hi:[1,0,0]
	v_mov_b32_e32 v188, v186
	v_mov_b32_e32 v189, v185
	v_pk_add_f32 v[164:165], v[188:189], v[164:165]
	ds_write2_b64 v7, v[138:139], v[164:165] offset0:4 offset1:5
	v_pk_fma_f32 v[138:139], v[46:47], s[50:51], v[50:51] op_sel:[0,0,1] op_sel_hi:[1,0,0] neg_lo:[0,0,1] neg_hi:[0,0,1]
	v_pk_fma_f32 v[46:47], v[46:47], s[50:51], v[50:51] op_sel:[0,0,1] op_sel_hi:[1,0,0]
	v_pk_mul_f32 v[50:51], v[88:89], s[36:37] op_sel_hi:[1,0]
	v_mov_b32_e32 v177, v179
	v_pk_fma_f32 v[88:89], v[82:83], s[44:45], v[50:51] op_sel:[0,0,1] op_sel_hi:[1,0,0] neg_lo:[0,0,1] neg_hi:[0,0,1]
	v_pk_fma_f32 v[50:51], v[82:83], s[44:45], v[50:51] op_sel:[0,0,1] op_sel_hi:[1,0,0]
	s_mov_b32 s44, s13
	s_mov_b32 s45, s12
	v_pk_fma_f32 v[82:83], v[58:59], s[48:49], v[64:65] op_sel:[0,0,1] op_sel_hi:[1,0,0] neg_lo:[0,0,1] neg_hi:[0,0,1]
	v_pk_fma_f32 v[58:59], v[58:59], s[48:49], v[64:65] op_sel:[0,0,1] op_sel_hi:[1,0,0]
	v_pk_fma_f32 v[64:65], v[60:61], s[46:47], v[62:63] op_sel:[0,0,1] op_sel_hi:[1,0,0] neg_lo:[0,0,1] neg_hi:[0,0,1]
	v_pk_fma_f32 v[60:61], v[60:61], s[46:47], v[62:63] op_sel:[0,0,1] op_sel_hi:[1,0,0]
	v_pk_mul_f32 v[62:63], v[90:91], s[22:23] op_sel_hi:[1,0]
	v_pk_mul_f32 v[72:73], v[72:73], s[44:45]
	v_pk_fma_f32 v[90:91], v[86:87], s[30:31], v[62:63] op_sel:[0,0,1] op_sel_hi:[1,0,0] neg_lo:[0,0,1] neg_hi:[0,0,1]
	v_pk_fma_f32 v[62:63], v[86:87], s[30:31], v[62:63] op_sel:[0,0,1] op_sel_hi:[1,0,0]
	v_pk_fma_f32 v[70:71], v[70:71], s[12:13], v[72:73] op_sel:[1,0,0] op_sel_hi:[0,1,1] neg_lo:[1,0,0] neg_hi:[1,0,0]
	v_pk_fma_f32 v[86:87], v[68:69], s[12:13], v[72:73]
	v_mov_b32_e32 v164, v90
	v_mov_b32_e32 v71, v87
	v_pk_add_f32 v[70:71], v[18:19], v[70:71]
	v_mov_b32_e32 v165, v63
	v_pk_add_f32 v[70:71], v[164:165], v[70:71]
	v_mov_b32_e32 v164, v138
	v_mov_b32_e32 v165, v47
	v_pk_add_f32 v[70:71], v[164:165], v[70:71]
	v_mov_b32_e32 v164, v88
	;; [unrolled: 3-line block ×4, first 2 shown]
	v_mov_b32_e32 v165, v61
	v_mov_b32_e32 v61, v65
	v_pk_fma_f32 v[64:65], v[68:69], s[12:13], v[72:73] neg_lo:[0,0,1] neg_hi:[0,0,1]
	v_mov_b32_e32 v63, v91
	v_mov_b32_e32 v87, v65
	v_pk_add_f32 v[64:65], v[18:19], v[86:87]
	v_mov_b32_e32 v47, v139
	v_pk_add_f32 v[62:63], v[62:63], v[64:65]
	;; [unrolled: 2-line block ×4, first 2 shown]
	v_pk_add_f32 v[70:71], v[164:165], v[70:71]
	v_pk_add_f32 v[46:47], v[58:59], v[46:47]
	v_pk_fma_f32 v[50:51], v[68:69], s[10:11], v[136:137] neg_lo:[0,0,1] neg_hi:[0,0,1]
	v_pk_add_f32 v[46:47], v[60:61], v[46:47]
	ds_write2_b64 v7, v[70:71], v[46:47] offset0:6 offset1:7
	v_pk_fma_f32 v[46:47], v[68:69], s[14:15], v[162:163] neg_lo:[0,0,1] neg_hi:[0,0,1]
	v_mov_b32_e32 v141, v51
	v_mov_b32_e32 v167, v47
	v_pk_add_f32 v[46:47], v[18:19], v[166:167]
	v_pk_add_f32 v[50:51], v[18:19], v[140:141]
	;; [unrolled: 1-line block ×6, first 2 shown]
	v_mov_b32_e32 v181, v183
	v_pk_add_f32 v[46:47], v[176:177], v[46:47]
	v_pk_add_f32 v[50:51], v[150:151], v[50:51]
	v_mov_b32_e32 v185, v187
	v_pk_add_f32 v[46:47], v[180:181], v[46:47]
	v_pk_add_f32 v[50:51], v[154:155], v[50:51]
	;; [unrolled: 1-line block ×4, first 2 shown]
	ds_write2_b64 v7, v[46:47], v[50:51] offset0:8 offset1:9
	v_pk_fma_f32 v[46:47], v[68:69], s[16:17], v[106:107] neg_lo:[0,0,1] neg_hi:[0,0,1]
	v_pk_fma_f32 v[50:51], v[68:69], s[4:5], v[74:75] neg_lo:[0,0,1] neg_hi:[0,0,1]
	v_mov_b32_e32 v105, v47
	v_mov_b32_e32 v67, v51
	v_pk_add_f32 v[46:47], v[18:19], v[104:105]
	v_pk_add_f32 v[50:51], v[18:19], v[66:67]
	;; [unrolled: 1-line block ×8, first 2 shown]
	v_mov_b32_e32 v121, v127
	v_pk_add_f32 v[46:47], v[116:117], v[46:47]
	v_mov_b32_e32 v97, v103
	v_pk_add_f32 v[50:51], v[92:93], v[50:51]
	v_pk_add_f32 v[46:47], v[120:121], v[46:47]
	v_pk_add_f32 v[50:51], v[96:97], v[50:51]
	ds_write2_b64 v7, v[46:47], v[50:51] offset0:10 offset1:11
	v_pk_add_f32 v[88:89], v[20:21], v[4:5]
	v_pk_add_f32 v[46:47], v[4:5], v[20:21] neg_lo:[0,1] neg_hi:[0,1]
	v_mov_b32_e32 v67, v89
	v_mov_b32_e32 v66, v47
	v_pk_add_f32 v[4:5], v[42:43], v[20:21]
	v_mov_b32_e32 v89, v46
	v_pk_mul_f32 v[42:43], v[66:67], s[42:43]
	v_mov_b32_e32 v64, v41
	v_mov_b32_e32 v65, v15
	;; [unrolled: 1-line block ×3, first 2 shown]
	v_pk_fma_f32 v[20:21], v[88:89], s[30:31], v[42:43]
	v_pk_fma_f32 v[40:41], v[88:89], s[30:31], v[42:43] neg_lo:[0,0,1] neg_hi:[0,0,1]
	v_pk_mul_f32 v[46:47], v[64:65], s[4:5]
	v_mov_b32_e32 v41, v21
	v_mov_b32_e32 v44, v48
	v_mov_b32_e32 v48, v52
	v_mov_b32_e32 v52, v54
	v_mov_b32_e32 v54, v56
	v_pk_add_f32 v[50:51], v[0:1], v[40:41]
	v_pk_fma_f32 v[40:41], v[14:15], s[24:25], v[46:47]
	v_pk_fma_f32 v[56:57], v[14:15], s[24:25], v[46:47] neg_lo:[0,0,1] neg_hi:[0,0,1]
	v_mov_b32_e32 v68, v37
	v_mov_b32_e32 v57, v41
	;; [unrolled: 1-line block ×3, first 2 shown]
	v_pk_add_f32 v[56:57], v[56:57], v[50:51]
	v_mov_b32_e32 v17, v36
	v_pk_mul_f32 v[50:51], v[68:69], s[16:17]
	v_mov_b32_e32 v70, v23
	v_pk_fma_f32 v[36:37], v[16:17], s[28:29], v[50:51]
	v_pk_fma_f32 v[58:59], v[16:17], s[28:29], v[50:51] neg_lo:[0,0,1] neg_hi:[0,0,1]
	v_mov_b32_e32 v71, v9
	v_mov_b32_e32 v59, v37
	v_pk_add_f32 v[58:59], v[58:59], v[56:57]
	v_mov_b32_e32 v9, v22
	v_pk_mul_f32 v[56:57], v[70:71], s[10:11]
	v_mov_b32_e32 v72, v35
	v_pk_fma_f32 v[22:23], v[8:9], s[38:39], v[56:57]
	v_pk_fma_f32 v[60:61], v[8:9], s[38:39], v[56:57] neg_lo:[0,0,1] neg_hi:[0,0,1]
	v_mov_b32_e32 v73, v13
	v_mov_b32_e32 v61, v23
	v_pk_add_f32 v[62:63], v[60:61], v[58:59]
	v_mov_b32_e32 v13, v34
	v_pk_mul_f32 v[60:61], v[72:73], s[14:15]
	v_mov_b32_e32 v38, v2
	v_pk_fma_f32 v[58:59], v[12:13], s[40:41], v[60:61]
	v_pk_fma_f32 v[34:35], v[12:13], s[40:41], v[60:61] neg_lo:[0,0,1] neg_hi:[0,0,1]
	v_pk_add_f32 v[18:19], v[18:19], v[38:39]
	v_mov_b32_e32 v2, v6
	v_mov_b32_e32 v35, v59
	;; [unrolled: 1-line block ×4, first 2 shown]
	v_pk_add_f32 v[2:3], v[2:3], v[18:19]
	v_pk_add_f32 v[34:35], v[34:35], v[62:63]
	v_mov_b32_e32 v11, v24
	v_pk_mul_f32 v[62:63], v[74:75], s[12:13]
	v_pk_add_f32 v[2:3], v[44:45], v[2:3]
	v_pk_fma_f32 v[24:25], v[10:11], s[44:45], v[62:63]
	v_pk_fma_f32 v[76:77], v[10:11], s[44:45], v[62:63] neg_lo:[0,0,1] neg_hi:[0,0,1]
	v_pk_add_f32 v[2:3], v[48:49], v[2:3]
	v_mov_b32_e32 v77, v25
	v_pk_add_f32 v[2:3], v[52:53], v[2:3]
	v_pk_add_f32 v[34:35], v[76:77], v[34:35]
	;; [unrolled: 1-line block ×3, first 2 shown]
	ds_write_b64 v7, v[2:3] offset:96
	s_and_saveexec_b64 s[42:43], vcc
	s_cbranch_execz .LBB0_20
; %bb.19:
	v_pk_mul_f32 v[54:55], v[88:89], s[24:25]
	v_pk_mul_f32 v[6:7], v[88:89], s[30:31]
	;; [unrolled: 1-line block ×6, first 2 shown]
	v_pk_fma_f32 v[90:91], v[66:67], s[4:5], v[54:55] neg_lo:[1,0,0] neg_hi:[1,0,0]
	v_pk_fma_f32 v[88:89], v[66:67], s[4:5], v[54:55]
	v_pk_mul_f32 v[52:53], v[14:15], s[38:39]
	v_mov_b32_e32 v91, v89
	v_pk_add_f32 v[92:93], v[0:1], v[90:91]
	v_pk_fma_f32 v[94:95], v[64:65], s[10:11], v[52:53] neg_lo:[1,0,0] neg_hi:[1,0,0]
	v_pk_fma_f32 v[90:91], v[64:65], s[10:11], v[52:53]
	v_pk_mul_f32 v[48:49], v[16:17], s[44:45]
	v_mov_b32_e32 v95, v91
	s_mov_b32 s52, s15
	s_mov_b32 s53, s18
	v_pk_add_f32 v[94:95], v[94:95], v[92:93]
	v_pk_fma_f32 v[96:97], v[68:69], s[12:13], v[48:49] neg_lo:[1,0,0] neg_hi:[1,0,0]
	v_pk_fma_f32 v[92:93], v[68:69], s[12:13], v[48:49]
	s_mov_b32 s19, s15
	v_pk_mul_f32 v[44:45], v[8:9], s[52:53]
	v_mov_b32_e32 v97, v93
	s_mov_b32 s46, s17
	s_mov_b32 s47, s20
	v_pk_add_f32 v[96:97], v[96:97], v[94:95]
	v_pk_fma_f32 v[98:99], v[70:71], s[18:19], v[44:45] neg_lo:[1,0,0] neg_hi:[1,0,0]
	v_pk_fma_f32 v[94:95], v[70:71], s[18:19], v[44:45]
	s_mov_b32 s21, s17
	v_pk_mul_f32 v[38:39], v[12:13], s[46:47]
	v_mov_b32_e32 v99, v95
	s_mov_b32 s31, s22
	v_pk_add_f32 v[98:99], v[98:99], v[96:97]
	v_pk_fma_f32 v[136:137], v[72:73], s[20:21], v[38:39] neg_lo:[1,0,0] neg_hi:[1,0,0]
	v_pk_fma_f32 v[96:97], v[72:73], s[20:21], v[38:39]
	s_mov_b32 s23, s30
	v_pk_mul_f32 v[18:19], v[10:11], s[30:31]
	v_mov_b32_e32 v137, v97
	v_pk_add_f32 v[136:137], v[136:137], v[98:99]
	v_pk_fma_f32 v[138:139], v[74:75], s[22:23], v[18:19] neg_lo:[1,0,0] neg_hi:[1,0,0]
	v_pk_fma_f32 v[98:99], v[74:75], s[22:23], v[18:19]
	s_mov_b32 s50, s13
	v_mov_b32_e32 v139, v99
	s_mov_b32 s51, s34
	v_pk_mul_f32 v[84:85], v[14:15], s[44:45]
	v_pk_add_f32 v[136:137], v[138:139], v[136:137]
	v_pk_fma_f32 v[138:139], v[66:67], s[16:17], v[86:87] neg_lo:[1,0,0] neg_hi:[1,0,0]
	v_pk_fma_f32 v[140:141], v[66:67], s[16:17], v[86:87]
	v_pk_mul_f32 v[116:117], v[8:9], s[50:51]
	v_pk_mul_f32 v[102:103], v[12:13], s[50:51]
	s_mov_b32 s50, s11
	s_mov_b32 s51, s26
	v_mov_b32_e32 v139, v141
	v_pk_fma_f32 v[142:143], v[64:65], s[12:13], v[84:85] neg_lo:[1,0,0] neg_hi:[1,0,0]
	v_pk_fma_f32 v[144:145], v[64:65], s[12:13], v[84:85]
	v_pk_mul_f32 v[82:83], v[16:17], s[50:51]
	s_mov_b32 s27, s11
	v_pk_add_f32 v[138:139], v[0:1], v[138:139]
	v_mov_b32_e32 v143, v145
	v_pk_add_f32 v[138:139], v[142:143], v[138:139]
	v_pk_fma_f32 v[142:143], v[68:69], s[26:27], v[82:83] neg_lo:[1,0,0] neg_hi:[1,0,0]
	v_pk_fma_f32 v[146:147], v[68:69], s[26:27], v[82:83]
	v_pk_mul_f32 v[80:81], v[8:9], s[30:31]
	v_mov_b32_e32 v143, v147
	v_pk_add_f32 v[138:139], v[142:143], v[138:139]
	v_pk_fma_f32 v[142:143], v[70:71], s[22:23], v[80:81] neg_lo:[1,0,0] neg_hi:[1,0,0]
	v_pk_fma_f32 v[148:149], v[70:71], s[22:23], v[80:81]
	v_pk_mul_f32 v[78:79], v[12:13], s[24:25]
	;; [unrolled: 5-line block ×3, first 2 shown]
	v_mov_b32_e32 v143, v151
	v_pk_add_f32 v[138:139], v[142:143], v[138:139]
	v_pk_fma_f32 v[142:143], v[74:75], s[14:15], v[76:77] neg_lo:[1,0,0] neg_hi:[1,0,0]
	v_pk_fma_f32 v[152:153], v[74:75], s[14:15], v[76:77]
	v_lshl_add_u32 v135, v128, 3, v135
	v_mov_b32_e32 v143, v153
	v_add_u32_e32 v21, 0xfe8, v135
	v_pk_add_f32 v[138:139], v[142:143], v[138:139]
	v_pk_mul_f32 v[108:109], v[14:15], s[52:53]
	ds_write2_b64 v21, v[136:137], v[138:139] offset1:1
	v_pk_fma_f32 v[136:137], v[66:67], s[10:11], v[110:111] neg_lo:[1,0,0] neg_hi:[1,0,0]
	v_pk_fma_f32 v[138:139], v[66:67], s[10:11], v[110:111]
	v_pk_fma_f32 v[142:143], v[64:65], s[18:19], v[108:109] neg_lo:[1,0,0] neg_hi:[1,0,0]
	v_mov_b32_e32 v137, v139
	v_pk_fma_f32 v[154:155], v[64:65], s[18:19], v[108:109]
	v_pk_mul_f32 v[106:107], v[16:17], s[30:31]
	v_pk_add_f32 v[136:137], v[0:1], v[136:137]
	v_mov_b32_e32 v143, v155
	v_pk_add_f32 v[136:137], v[142:143], v[136:137]
	v_pk_fma_f32 v[142:143], v[68:69], s[22:23], v[106:107] neg_lo:[1,0,0] neg_hi:[1,0,0]
	v_pk_fma_f32 v[156:157], v[68:69], s[22:23], v[106:107]
	v_pk_mul_f32 v[104:105], v[8:9], s[28:29]
	v_mov_b32_e32 v143, v157
	v_pk_add_f32 v[136:137], v[142:143], v[136:137]
	v_pk_fma_f32 v[142:143], v[70:71], s[16:17], v[104:105] neg_lo:[1,0,0] neg_hi:[1,0,0]
	v_pk_fma_f32 v[158:159], v[70:71], s[16:17], v[104:105]
	s_mov_b32 s35, s13
	v_mov_b32_e32 v143, v159
	s_mov_b32 s48, s5
	s_mov_b32 s49, s36
	v_pk_add_f32 v[136:137], v[142:143], v[136:137]
	v_pk_fma_f32 v[142:143], v[72:73], s[34:35], v[102:103] neg_lo:[1,0,0] neg_hi:[1,0,0]
	v_pk_fma_f32 v[160:161], v[72:73], s[34:35], v[102:103]
	s_mov_b32 s37, s5
	v_pk_mul_f32 v[100:101], v[10:11], s[48:49]
	v_mov_b32_e32 v143, v161
	v_pk_add_f32 v[136:137], v[142:143], v[136:137]
	v_pk_fma_f32 v[142:143], v[74:75], s[36:37], v[100:101] neg_lo:[1,0,0] neg_hi:[1,0,0]
	v_pk_fma_f32 v[162:163], v[74:75], s[36:37], v[100:101]
	v_pk_mul_f32 v[120:121], v[14:15], s[46:47]
	v_mov_b32_e32 v143, v163
	v_pk_add_f32 v[136:137], v[142:143], v[136:137]
	v_pk_fma_f32 v[142:143], v[66:67], s[14:15], v[122:123] neg_lo:[1,0,0] neg_hi:[1,0,0]
	v_pk_fma_f32 v[164:165], v[66:67], s[14:15], v[122:123]
	v_pk_fma_f32 v[166:167], v[64:65], s[20:21], v[120:121] neg_lo:[1,0,0] neg_hi:[1,0,0]
	v_mov_b32_e32 v143, v165
	v_pk_fma_f32 v[168:169], v[64:65], s[20:21], v[120:121]
	v_pk_mul_f32 v[118:119], v[16:17], s[24:25]
	v_pk_add_f32 v[142:143], v[0:1], v[142:143]
	v_mov_b32_e32 v167, v169
	v_pk_add_f32 v[142:143], v[166:167], v[142:143]
	v_pk_fma_f32 v[166:167], v[68:69], s[4:5], v[118:119] neg_lo:[1,0,0] neg_hi:[1,0,0]
	v_pk_fma_f32 v[170:171], v[68:69], s[4:5], v[118:119]
	v_pk_fma_f32 v[172:173], v[70:71], s[34:35], v[116:117]
	v_mov_b32_e32 v167, v171
	v_pk_add_f32 v[142:143], v[166:167], v[142:143]
	v_pk_fma_f32 v[166:167], v[70:71], s[34:35], v[116:117] neg_lo:[1,0,0] neg_hi:[1,0,0]
	v_pk_mul_f32 v[114:115], v[12:13], s[30:31]
	v_mov_b32_e32 v167, v173
	v_pk_add_f32 v[142:143], v[166:167], v[142:143]
	v_pk_fma_f32 v[166:167], v[72:73], s[22:23], v[114:115] neg_lo:[1,0,0] neg_hi:[1,0,0]
	v_pk_fma_f32 v[174:175], v[72:73], s[22:23], v[114:115]
	v_pk_mul_f32 v[112:113], v[10:11], s[38:39]
	v_mov_b32_e32 v167, v175
	v_pk_add_f32 v[142:143], v[166:167], v[142:143]
	v_pk_fma_f32 v[166:167], v[74:75], s[10:11], v[112:113] neg_lo:[1,0,0] neg_hi:[1,0,0]
	v_pk_fma_f32 v[176:177], v[74:75], s[10:11], v[112:113]
	v_add_u32_e32 v21, 0xff8, v135
	v_mov_b32_e32 v167, v177
	v_pk_add_f32 v[142:143], v[166:167], v[142:143]
	v_pk_mul_f32 v[126:127], v[14:15], s[30:31]
	ds_write2_b64 v21, v[136:137], v[142:143] offset1:1
	v_pk_fma_f32 v[136:137], v[66:67], s[12:13], v[124:125] neg_lo:[1,0,0] neg_hi:[1,0,0]
	v_pk_fma_f32 v[142:143], v[66:67], s[12:13], v[124:125]
	v_pk_fma_f32 v[166:167], v[64:65], s[22:23], v[126:127] neg_lo:[1,0,0] neg_hi:[1,0,0]
	v_mov_b32_e32 v137, v143
	v_pk_fma_f32 v[178:179], v[64:65], s[22:23], v[126:127]
	v_pk_add_f32 v[136:137], v[0:1], v[136:137]
	v_mov_b32_e32 v167, v179
	v_pk_add_f32 v[136:137], v[166:167], v[136:137]
	v_pk_mul_f32 v[166:167], v[16:17], s[40:41]
	v_pk_fma_f32 v[124:125], v[66:67], s[12:13], v[124:125] neg_lo:[0,0,1] neg_hi:[0,0,1]
	v_pk_fma_f32 v[180:181], v[68:69], s[14:15], v[166:167] neg_lo:[1,0,0] neg_hi:[1,0,0]
	v_pk_fma_f32 v[182:183], v[68:69], s[14:15], v[166:167]
	v_mov_b32_e32 v143, v125
	v_mov_b32_e32 v181, v183
	v_pk_add_f32 v[136:137], v[180:181], v[136:137]
	v_pk_mul_f32 v[180:181], v[8:9], s[48:49]
	v_pk_fma_f32 v[124:125], v[64:65], s[22:23], v[126:127] neg_lo:[0,0,1] neg_hi:[0,0,1]
	v_pk_fma_f32 v[184:185], v[70:71], s[36:37], v[180:181] neg_lo:[1,0,0] neg_hi:[1,0,0]
	v_pk_fma_f32 v[186:187], v[70:71], s[36:37], v[180:181]
	v_pk_fma_f32 v[122:123], v[66:67], s[14:15], v[122:123] neg_lo:[0,0,1] neg_hi:[0,0,1]
	v_mov_b32_e32 v185, v187
	v_pk_add_f32 v[136:137], v[184:185], v[136:137]
	v_pk_mul_f32 v[184:185], v[12:13], s[38:39]
	v_pk_fma_f32 v[110:111], v[66:67], s[10:11], v[110:111] neg_lo:[0,0,1] neg_hi:[0,0,1]
	v_pk_fma_f32 v[188:189], v[72:73], s[10:11], v[184:185] neg_lo:[1,0,0] neg_hi:[1,0,0]
	v_pk_fma_f32 v[190:191], v[72:73], s[10:11], v[184:185]
	v_mov_b32_e32 v179, v125
	v_pk_add_f32 v[124:125], v[0:1], v[142:143]
	v_pk_fma_f32 v[126:127], v[68:69], s[14:15], v[166:167] neg_lo:[0,0,1] neg_hi:[0,0,1]
	v_mov_b32_e32 v165, v123
	v_pk_fma_f32 v[120:121], v[64:65], s[20:21], v[120:121] neg_lo:[0,0,1] neg_hi:[0,0,1]
	v_mov_b32_e32 v139, v111
	v_pk_fma_f32 v[108:109], v[64:65], s[18:19], v[108:109] neg_lo:[0,0,1] neg_hi:[0,0,1]
	v_pk_fma_f32 v[86:87], v[66:67], s[16:17], v[86:87] neg_lo:[0,0,1] neg_hi:[0,0,1]
	;; [unrolled: 1-line block ×3, first 2 shown]
	v_mov_b32_e32 v189, v191
	v_pk_add_f32 v[124:125], v[178:179], v[124:125]
	v_mov_b32_e32 v183, v127
	v_pk_fma_f32 v[126:127], v[70:71], s[36:37], v[180:181] neg_lo:[0,0,1] neg_hi:[0,0,1]
	v_pk_add_f32 v[122:123], v[0:1], v[164:165]
	v_mov_b32_e32 v169, v121
	v_pk_fma_f32 v[118:119], v[68:69], s[4:5], v[118:119] neg_lo:[0,0,1] neg_hi:[0,0,1]
	;; [unrolled: 3-line block ×3, first 2 shown]
	v_mov_b32_e32 v141, v87
	v_pk_fma_f32 v[84:85], v[64:65], s[12:13], v[84:85] neg_lo:[0,0,1] neg_hi:[0,0,1]
	v_mov_b32_e32 v89, v55
	v_pk_fma_f32 v[52:53], v[64:65], s[10:11], v[52:53] neg_lo:[0,0,1] neg_hi:[0,0,1]
	v_pk_add_f32 v[136:137], v[188:189], v[136:137]
	v_pk_mul_f32 v[188:189], v[10:11], s[46:47]
	v_pk_add_f32 v[124:125], v[182:183], v[124:125]
	v_mov_b32_e32 v187, v127
	v_pk_fma_f32 v[126:127], v[72:73], s[10:11], v[184:185] neg_lo:[0,0,1] neg_hi:[0,0,1]
	v_pk_add_f32 v[120:121], v[168:169], v[122:123]
	v_mov_b32_e32 v171, v119
	v_pk_fma_f32 v[116:117], v[70:71], s[34:35], v[116:117] neg_lo:[0,0,1] neg_hi:[0,0,1]
	;; [unrolled: 3-line block ×5, first 2 shown]
	v_pk_fma_f32 v[192:193], v[74:75], s[20:21], v[188:189] neg_lo:[1,0,0] neg_hi:[1,0,0]
	v_pk_fma_f32 v[194:195], v[74:75], s[20:21], v[188:189]
	v_pk_add_f32 v[124:125], v[186:187], v[124:125]
	v_mov_b32_e32 v191, v127
	v_pk_fma_f32 v[126:127], v[74:75], s[20:21], v[188:189] neg_lo:[0,0,1] neg_hi:[0,0,1]
	v_pk_add_f32 v[118:119], v[170:171], v[120:121]
	v_mov_b32_e32 v173, v117
	v_pk_fma_f32 v[114:115], v[72:73], s[22:23], v[114:115] neg_lo:[0,0,1] neg_hi:[0,0,1]
	;; [unrolled: 3-line block ×5, first 2 shown]
	v_mov_b32_e32 v193, v195
	v_add_u32_e32 v21, 0xfd8, v135
	v_pk_add_f32 v[124:125], v[190:191], v[124:125]
	v_mov_b32_e32 v195, v127
	v_pk_add_f32 v[116:117], v[172:173], v[118:119]
	v_mov_b32_e32 v175, v115
	v_pk_fma_f32 v[112:113], v[74:75], s[10:11], v[112:113] neg_lo:[0,0,1] neg_hi:[0,0,1]
	v_pk_add_f32 v[104:105], v[158:159], v[106:107]
	v_mov_b32_e32 v161, v103
	v_pk_fma_f32 v[100:101], v[74:75], s[36:37], v[100:101] neg_lo:[0,0,1] neg_hi:[0,0,1]
	v_pk_add_f32 v[82:83], v[146:147], v[84:85]
	v_mov_b32_e32 v149, v81
	v_pk_fma_f32 v[78:79], v[72:73], s[4:5], v[78:79] neg_lo:[0,0,1] neg_hi:[0,0,1]
	v_pk_add_f32 v[48:49], v[92:93], v[52:53]
	v_mov_b32_e32 v95, v45
	v_pk_fma_f32 v[38:39], v[72:73], s[20:21], v[38:39] neg_lo:[0,0,1] neg_hi:[0,0,1]
	v_pk_add_f32 v[136:137], v[192:193], v[136:137]
	ds_write2_b64 v21, v[4:5], v[34:35] offset1:1
	v_add_u32_e32 v21, 0x1008, v135
	v_pk_add_f32 v[124:125], v[194:195], v[124:125]
	v_pk_add_f32 v[114:115], v[174:175], v[116:117]
	v_mov_b32_e32 v177, v113
	v_pk_add_f32 v[102:103], v[160:161], v[104:105]
	v_mov_b32_e32 v163, v101
	;; [unrolled: 2-line block ×3, first 2 shown]
	v_pk_fma_f32 v[76:77], v[74:75], s[14:15], v[76:77] neg_lo:[0,0,1] neg_hi:[0,0,1]
	v_pk_add_f32 v[44:45], v[94:95], v[48:49]
	v_mov_b32_e32 v97, v39
	v_pk_fma_f32 v[18:19], v[74:75], s[22:23], v[18:19] neg_lo:[0,0,1] neg_hi:[0,0,1]
	ds_write2_b64 v21, v[136:137], v[124:125] offset1:1
	v_add_u32_e32 v21, 0x1018, v135
	v_pk_add_f32 v[112:113], v[176:177], v[114:115]
	v_pk_add_f32 v[100:101], v[162:163], v[102:103]
	;; [unrolled: 1-line block ×3, first 2 shown]
	v_mov_b32_e32 v153, v77
	v_pk_add_f32 v[38:39], v[96:97], v[44:45]
	v_mov_b32_e32 v99, v19
	v_pk_mul_f32 v[14:15], v[14:15], s[24:25]
	ds_write2_b64 v21, v[112:113], v[100:101] offset1:1
	v_add_u32_e32 v21, 0x1028, v135
	v_pk_add_f32 v[76:77], v[152:153], v[78:79]
	v_pk_add_f32 v[18:19], v[98:99], v[38:39]
	v_pk_add_f32 v[6:7], v[42:43], v[6:7] neg_lo:[0,1] neg_hi:[0,1]
	v_pk_mul_f32 v[16:17], v[16:17], s[28:29]
	ds_write2_b64 v21, v[76:77], v[18:19] offset1:1
	v_mov_b32_e32 v21, v7
	v_pk_add_f32 v[6:7], v[46:47], v[14:15] neg_lo:[0,1] neg_hi:[0,1]
	v_pk_mul_f32 v[8:9], v[8:9], s[38:39]
	v_pk_add_f32 v[0:1], v[0:1], v[20:21]
	v_mov_b32_e32 v41, v7
	v_pk_add_f32 v[6:7], v[50:51], v[16:17] neg_lo:[0,1] neg_hi:[0,1]
	v_pk_mul_f32 v[12:13], v[12:13], s[40:41]
	v_pk_add_f32 v[0:1], v[40:41], v[0:1]
	v_mov_b32_e32 v37, v7
	v_pk_add_f32 v[6:7], v[56:57], v[8:9] neg_lo:[0,1] neg_hi:[0,1]
	v_pk_mul_f32 v[10:11], v[10:11], s[44:45]
	v_pk_add_f32 v[0:1], v[36:37], v[0:1]
	v_mov_b32_e32 v23, v7
	v_pk_add_f32 v[6:7], v[60:61], v[12:13] neg_lo:[0,1] neg_hi:[0,1]
	v_pk_add_f32 v[0:1], v[22:23], v[0:1]
	v_mov_b32_e32 v59, v7
	v_pk_add_f32 v[6:7], v[62:63], v[10:11] neg_lo:[0,1] neg_hi:[0,1]
	v_pk_add_f32 v[0:1], v[58:59], v[0:1]
	v_mov_b32_e32 v25, v7
	v_pk_add_f32 v[0:1], v[24:25], v[0:1]
	ds_write_b64 v135, v[0:1] offset:4152
.LBB0_20:
	s_or_b64 exec, exec, s[42:43]
	v_add_u32_e32 v38, 0x400, v131
	s_waitcnt lgkmcnt(0)
	s_barrier
	ds_read2_b64 v[6:9], v131 offset0:117 offset1:182
	ds_read2_b64 v[14:17], v134 offset0:43 offset1:108
	;; [unrolled: 1-line block ×5, first 2 shown]
	ds_read_b64 v[0:1], v130
	ds_read_b64 v[36:37], v131 offset:3848
	v_cmp_gt_u32_e32 vcc, 26, v30
	s_and_saveexec_b64 s[4:5], vcc
	s_cbranch_execz .LBB0_22
; %bb.21:
	ds_read2_b64 v[2:5], v38 offset0:28 offset1:210
	ds_read_b64 v[34:35], v131 offset:4160
.LBB0_22:
	s_or_b64 exec, exec, s[4:5]
	s_movk_i32 s5, 0x4f
	v_add_u16_e32 v39, 39, v30
	v_mul_lo_u16_sdwa v40, v39, s5 dst_sel:DWORD dst_unused:UNUSED_PAD src0_sel:BYTE_0 src1_sel:DWORD
	v_lshrrev_b16_e32 v58, 10, v40
	v_mul_lo_u16_e32 v40, 13, v58
	v_sub_u16_e32 v59, v39, v40
	v_add_u16_e32 v39, 0x4e, v30
	v_mul_lo_u16_sdwa v40, v39, s5 dst_sel:DWORD dst_unused:UNUSED_PAD src0_sel:BYTE_0 src1_sel:DWORD
	v_lshrrev_b16_e32 v60, 10, v40
	v_mul_lo_u16_e32 v40, 13, v60
	v_sub_u16_e32 v61, v39, v40
	v_add_u16_e32 v39, 0x75, v30
	v_mul_lo_u16_sdwa v38, v30, s5 dst_sel:DWORD dst_unused:UNUSED_PAD src0_sel:BYTE_0 src1_sel:DWORD
	v_mul_lo_u16_sdwa v40, v39, s5 dst_sel:DWORD dst_unused:UNUSED_PAD src0_sel:BYTE_0 src1_sel:DWORD
	v_lshrrev_b16_e32 v56, 10, v38
	v_lshrrev_b16_e32 v62, 10, v40
	v_mul_lo_u16_e32 v38, 13, v56
	v_mul_lo_u16_e32 v40, 13, v62
	v_sub_u16_e32 v57, v30, v38
	v_mov_b32_e32 v38, 4
	v_sub_u16_e32 v63, v39, v40
	v_lshlrev_b32_sdwa v39, v38, v63 dst_sel:DWORD dst_unused:UNUSED_PAD src0_sel:DWORD src1_sel:BYTE_0
	global_load_dwordx4 v[40:43], v39, s[8:9]
	v_lshlrev_b32_sdwa v39, v38, v61 dst_sel:DWORD dst_unused:UNUSED_PAD src0_sel:DWORD src1_sel:BYTE_0
	global_load_dwordx4 v[44:47], v39, s[8:9]
	;; [unrolled: 2-line block ×4, first 2 shown]
	s_movk_i32 s12, 0x138
	v_mov_b32_e32 v39, 3
	v_mad_u32_u24 v56, v56, s12, 0
	v_mad_u32_u24 v60, v60, s12, 0
	;; [unrolled: 1-line block ×3, first 2 shown]
	v_lshlrev_b32_sdwa v57, v39, v57 dst_sel:DWORD dst_unused:UNUSED_PAD src0_sel:DWORD src1_sel:BYTE_0
	v_lshlrev_b32_sdwa v61, v39, v61 dst_sel:DWORD dst_unused:UNUSED_PAD src0_sel:DWORD src1_sel:BYTE_0
	;; [unrolled: 1-line block ×3, first 2 shown]
	v_add3_u32 v74, v56, v57, v133
	v_add3_u32 v75, v60, v61, v133
	v_add3_u32 v76, v62, v63, v133
	s_mov_b32 s4, 0x3f5db3d7
	s_waitcnt lgkmcnt(0)
	s_barrier
	v_mad_u32_u24 v58, v58, s12, 0
	v_lshlrev_b32_sdwa v59, v39, v59 dst_sel:DWORD dst_unused:UNUSED_PAD src0_sel:DWORD src1_sel:BYTE_0
	v_add3_u32 v59, v58, v59, v133
	s_waitcnt vmcnt(3)
	v_pk_mul_f32 v[56:57], v[40:41], v[14:15] op_sel:[0,1]
	s_nop 0
	v_pk_fma_f32 v[72:73], v[40:41], v[14:15], v[56:57] op_sel:[0,0,1] op_sel_hi:[1,1,0] neg_lo:[0,0,1] neg_hi:[0,0,1]
	s_waitcnt vmcnt(2)
	v_pk_mul_f32 v[60:61], v[44:45], v[20:21] op_sel:[0,1]
	v_pk_mul_f32 v[62:63], v[46:47], v[24:25] op_sel:[0,1]
	s_waitcnt vmcnt(1)
	v_pk_mul_f32 v[64:65], v[48:49], v[18:19] op_sel:[0,1]
	v_pk_mul_f32 v[66:67], v[50:51], v[22:23] op_sel:[0,1]
	;; [unrolled: 3-line block ×3, first 2 shown]
	v_pk_fma_f32 v[14:15], v[40:41], v[14:15], v[56:57] op_sel:[0,0,1] op_sel_hi:[1,0,0]
	v_pk_fma_f32 v[56:57], v[44:45], v[20:21], v[60:61] op_sel:[0,0,1] op_sel_hi:[1,1,0] neg_lo:[0,0,1] neg_hi:[0,0,1]
	v_pk_fma_f32 v[20:21], v[44:45], v[20:21], v[60:61] op_sel:[0,0,1] op_sel_hi:[1,0,0]
	v_pk_fma_f32 v[44:45], v[46:47], v[24:25], v[62:63] op_sel:[0,0,1] op_sel_hi:[1,1,0] neg_lo:[0,0,1] neg_hi:[0,0,1]
	v_pk_fma_f32 v[24:25], v[46:47], v[24:25], v[62:63] op_sel:[0,0,1] op_sel_hi:[1,0,0]
	v_pk_fma_f32 v[46:47], v[48:49], v[18:19], v[64:65] op_sel:[0,0,1] op_sel_hi:[1,1,0] neg_lo:[0,0,1] neg_hi:[0,0,1]
	v_pk_fma_f32 v[18:19], v[48:49], v[18:19], v[64:65] op_sel:[0,0,1] op_sel_hi:[1,0,0]
	v_pk_fma_f32 v[48:49], v[50:51], v[22:23], v[66:67] op_sel:[0,0,1] op_sel_hi:[1,1,0] neg_lo:[0,0,1] neg_hi:[0,0,1]
	v_pk_fma_f32 v[22:23], v[50:51], v[22:23], v[66:67] op_sel:[0,0,1] op_sel_hi:[1,0,0]
	v_pk_fma_f32 v[50:51], v[52:53], v[8:9], v[68:69] op_sel:[0,0,1] op_sel_hi:[1,1,0] neg_lo:[0,0,1] neg_hi:[0,0,1]
	v_pk_fma_f32 v[8:9], v[52:53], v[8:9], v[68:69] op_sel:[0,0,1] op_sel_hi:[1,0,0]
	v_pk_fma_f32 v[52:53], v[54:55], v[16:17], v[70:71] op_sel:[0,0,1] op_sel_hi:[1,1,0] neg_lo:[0,0,1] neg_hi:[0,0,1]
	v_pk_fma_f32 v[16:17], v[54:55], v[16:17], v[70:71] op_sel:[0,0,1] op_sel_hi:[1,0,0]
	v_mov_b32_e32 v51, v9
	v_mov_b32_e32 v53, v17
	;; [unrolled: 1-line block ×4, first 2 shown]
	v_pk_add_f32 v[22:23], v[50:51], v[52:53]
	v_pk_add_f32 v[24:25], v[50:51], v[52:53] neg_lo:[0,1] neg_hi:[0,1]
	v_mov_b32_e32 v57, v21
	v_pk_add_f32 v[20:21], v[0:1], v[50:51]
	v_pk_fma_f32 v[0:1], v[22:23], 0.5, v[0:1] op_sel_hi:[1,0,1] neg_lo:[1,0,0] neg_hi:[1,0,0]
	v_pk_mul_f32 v[22:23], v[24:25], s[4:5] op_sel_hi:[1,0]
	v_mov_b32_e32 v47, v19
	v_pk_add_f32 v[24:25], v[0:1], v[22:23] op_sel:[0,1] op_sel_hi:[1,0]
	v_pk_add_f32 v[0:1], v[0:1], v[22:23] op_sel:[0,1] op_sel_hi:[1,0] neg_lo:[0,1] neg_hi:[0,1]
	v_pk_add_f32 v[18:19], v[10:11], v[46:47]
	v_mov_b32_e32 v23, v1
	v_mov_b32_e32 v1, v25
	ds_write_b64 v74, v[0:1] offset:208
	v_pk_add_f32 v[0:1], v[46:47], v[48:49]
	v_pk_add_f32 v[20:21], v[20:21], v[52:53]
	v_pk_fma_f32 v[0:1], v[0:1], 0.5, v[10:11] op_sel_hi:[1,0,1] neg_lo:[1,0,0] neg_hi:[1,0,0]
	v_pk_add_f32 v[10:11], v[46:47], v[48:49] neg_lo:[0,1] neg_hi:[0,1]
	v_mov_b32_e32 v22, v24
	v_pk_mul_f32 v[10:11], v[10:11], s[4:5] op_sel_hi:[1,0]
	ds_write2_b64 v74, v[20:21], v[22:23] offset1:13
	v_pk_add_f32 v[20:21], v[0:1], v[10:11] op_sel:[0,1] op_sel_hi:[1,0]
	v_pk_add_f32 v[0:1], v[0:1], v[10:11] op_sel:[0,1] op_sel_hi:[1,0] neg_lo:[0,1] neg_hi:[0,1]
	v_pk_add_f32 v[18:19], v[18:19], v[48:49]
	v_mov_b32_e32 v10, v20
	v_mov_b32_e32 v11, v1
	v_mov_b32_e32 v1, v21
	v_mov_b32_e32 v58, v43
	ds_write2_b64 v59, v[18:19], v[10:11] offset1:13
	ds_write_b64 v59, v[0:1] offset:208
	v_pk_add_f32 v[0:1], v[56:57], v[44:45]
	v_pk_add_f32 v[10:11], v[56:57], v[44:45] neg_lo:[0,1] neg_hi:[0,1]
	v_pk_mul_f32 v[40:41], v[36:37], v[58:59] op_sel_hi:[1,0]
	v_pk_fma_f32 v[0:1], v[0:1], 0.5, v[12:13] op_sel_hi:[1,0,1] neg_lo:[1,0,0] neg_hi:[1,0,0]
	v_pk_mul_f32 v[10:11], v[10:11], s[4:5] op_sel_hi:[1,0]
	v_mov_b32_e32 v73, v15
	v_pk_fma_f32 v[14:15], v[36:37], v[42:43], v[40:41] op_sel:[0,0,1] op_sel_hi:[1,1,0] neg_lo:[0,0,1] neg_hi:[0,0,1]
	v_pk_fma_f32 v[36:37], v[36:37], v[42:43], v[40:41] op_sel:[0,0,1] op_sel_hi:[1,0,0]
	v_pk_add_f32 v[16:17], v[12:13], v[56:57]
	v_pk_add_f32 v[12:13], v[0:1], v[10:11] op_sel:[0,1] op_sel_hi:[1,0]
	v_pk_add_f32 v[0:1], v[0:1], v[10:11] op_sel:[0,1] op_sel_hi:[1,0] neg_lo:[0,1] neg_hi:[0,1]
	v_mov_b32_e32 v15, v37
	v_mov_b32_e32 v11, v1
	;; [unrolled: 1-line block ×3, first 2 shown]
	ds_write_b64 v75, v[0:1] offset:208
	v_pk_add_f32 v[0:1], v[72:73], v[14:15]
	v_pk_add_f32 v[8:9], v[6:7], v[72:73]
	v_pk_fma_f32 v[0:1], v[0:1], 0.5, v[6:7] op_sel_hi:[1,0,1] neg_lo:[1,0,0] neg_hi:[1,0,0]
	v_pk_add_f32 v[6:7], v[72:73], v[14:15] neg_lo:[0,1] neg_hi:[0,1]
	v_pk_add_f32 v[16:17], v[16:17], v[44:45]
	v_mov_b32_e32 v10, v12
	v_pk_mul_f32 v[6:7], v[6:7], s[4:5] op_sel_hi:[1,0]
	ds_write2_b64 v75, v[16:17], v[10:11] offset1:13
	v_pk_add_f32 v[10:11], v[0:1], v[6:7] op_sel:[0,1] op_sel_hi:[1,0]
	v_pk_add_f32 v[0:1], v[0:1], v[6:7] op_sel:[0,1] op_sel_hi:[1,0] neg_lo:[0,1] neg_hi:[0,1]
	v_pk_add_f32 v[8:9], v[8:9], v[14:15]
	v_mov_b32_e32 v6, v10
	v_mov_b32_e32 v7, v1
	;; [unrolled: 1-line block ×3, first 2 shown]
	ds_write2_b64 v76, v[8:9], v[6:7] offset1:13
	ds_write_b64 v76, v[0:1] offset:208
	s_and_saveexec_b64 s[10:11], vcc
	s_cbranch_execz .LBB0_24
; %bb.23:
	v_add_u16_e32 v0, 0x9c, v30
	v_mul_lo_u16_sdwa v1, v0, s5 dst_sel:DWORD dst_unused:UNUSED_PAD src0_sel:BYTE_0 src1_sel:DWORD
	v_lshrrev_b16_e32 v1, 10, v1
	v_mul_lo_u16_e32 v6, 13, v1
	v_sub_u16_e32 v0, v0, v6
	v_lshlrev_b32_sdwa v6, v38, v0 dst_sel:DWORD dst_unused:UNUSED_PAD src0_sel:DWORD src1_sel:BYTE_0
	global_load_dwordx4 v[6:9], v6, s[8:9]
	v_mad_u32_u24 v1, v1, s12, 0
	v_lshlrev_b32_sdwa v0, v39, v0 dst_sel:DWORD dst_unused:UNUSED_PAD src0_sel:DWORD src1_sel:BYTE_0
	v_add3_u32 v14, v1, v0, v133
	s_waitcnt vmcnt(0)
	v_pk_mul_f32 v[0:1], v[4:5], v[6:7] op_sel:[1,0]
	v_pk_mul_f32 v[10:11], v[34:35], v[8:9] op_sel:[1,0]
	v_pk_fma_f32 v[12:13], v[4:5], v[6:7], v[0:1] op_sel:[0,0,1] op_sel_hi:[1,1,0] neg_lo:[0,0,1] neg_hi:[0,0,1]
	v_pk_fma_f32 v[0:1], v[4:5], v[6:7], v[0:1] op_sel:[0,0,1] op_sel_hi:[0,1,0]
	v_pk_fma_f32 v[4:5], v[34:35], v[8:9], v[10:11] op_sel:[0,0,1] op_sel_hi:[1,1,0] neg_lo:[0,0,1] neg_hi:[0,0,1]
	v_pk_fma_f32 v[6:7], v[34:35], v[8:9], v[10:11] op_sel:[0,0,1] op_sel_hi:[0,1,0]
	v_mov_b32_e32 v13, v1
	v_mov_b32_e32 v5, v7
	v_pk_add_f32 v[0:1], v[2:3], v[12:13]
	v_pk_add_f32 v[6:7], v[12:13], v[4:5]
	v_pk_add_f32 v[8:9], v[12:13], v[4:5] neg_lo:[0,1] neg_hi:[0,1]
	v_pk_add_f32 v[0:1], v[0:1], v[4:5]
	v_pk_fma_f32 v[2:3], -0.5, v[6:7], v[2:3] op_sel_hi:[0,1,1]
	v_pk_mul_f32 v[4:5], v[8:9], s[4:5] op_sel_hi:[1,0]
	s_nop 0
	v_pk_add_f32 v[6:7], v[2:3], v[4:5] op_sel:[0,1] op_sel_hi:[1,0]
	v_pk_add_f32 v[2:3], v[2:3], v[4:5] op_sel:[0,1] op_sel_hi:[1,0] neg_lo:[0,1] neg_hi:[0,1]
	v_mov_b32_e32 v4, v6
	v_mov_b32_e32 v5, v3
	;; [unrolled: 1-line block ×3, first 2 shown]
	ds_write2_b64 v14, v[0:1], v[4:5] offset1:13
	ds_write_b64 v14, v[2:3] offset:208
.LBB0_24:
	s_or_b64 exec, exec, s[10:11]
	v_mul_u32_u24_e32 v0, 6, v30
	v_lshlrev_b32_e32 v0, 3, v0
	s_waitcnt lgkmcnt(0)
	s_barrier
	global_load_dwordx4 v[12:15], v0, s[8:9] offset:224
	global_load_dwordx4 v[4:7], v0, s[8:9] offset:208
	;; [unrolled: 1-line block ×3, first 2 shown]
	ds_read2_b64 v[0:3], v131 offset0:39 offset1:78
	ds_read2_b64 v[8:11], v131 offset0:117 offset1:156
	ds_read2_b64 v[20:23], v131 offset0:195 offset1:234
	v_add_u32_e32 v82, 0x800, v131
	ds_read2_b64 v[34:37], v82 offset0:17 offset1:56
	ds_read2_b64 v[38:41], v82 offset0:95 offset1:134
	;; [unrolled: 1-line block ×3, first 2 shown]
	s_waitcnt lgkmcnt(5)
	v_mov_b32_e32 v24, v3
	s_waitcnt lgkmcnt(4)
	v_mov_b32_e32 v46, v11
	s_waitcnt lgkmcnt(3)
	v_mov_b32_e32 v49, v22
	s_waitcnt lgkmcnt(2)
	v_mov_b32_e32 v11, v37
	v_mov_b32_e32 v47, v36
	s_waitcnt lgkmcnt(1)
	v_mov_b32_e32 v48, v41
	ds_read_b64 v[76:77], v130
	s_mov_b32 s20, 0x3d64c772
	s_mov_b32 s21, 0x3f4a47b2
	;; [unrolled: 1-line block ×12, first 2 shown]
	s_waitcnt vmcnt(2)
	v_mul_f32_e32 v51, v13, v22
	s_waitcnt vmcnt(1)
	v_pk_mul_f32 v[52:53], v[20:21], v[6:7]
	v_mul_f32_e32 v25, v39, v14
	v_mul_f32_e32 v55, v38, v15
	v_mov_b32_e32 v22, v7
	v_mov_b32_e32 v61, v14
	;; [unrolled: 1-line block ×3, first 2 shown]
	v_mul_f32_e32 v37, v14, v37
	v_mul_f32_e32 v15, v15, v36
	s_waitcnt vmcnt(0) lgkmcnt(1)
	v_pk_mul_f32 v[66:67], v[44:45], v[18:19] op_sel_hi:[1,0]
	v_mov_b32_e32 v52, v19
	v_mov_b32_e32 v54, v19
	;; [unrolled: 1-line block ×3, first 2 shown]
	v_mul_f32_e32 v72, v12, v23
	v_mul_f32_e32 v50, v41, v17
	v_pk_mul_f32 v[56:57], v[42:43], v[16:17]
	v_pk_mul_f32 v[58:59], v[4:5], v[2:3] op_sel_hi:[1,0]
	v_mov_b32_e32 v62, v7
	v_mov_b32_e32 v41, v23
	v_pk_mul_f32 v[22:23], v[22:23], v[46:47]
	v_pk_fma_f32 v[68:69], v[44:45], v[52:53], v[66:67] op_sel:[0,0,1] op_sel_hi:[1,1,0]
	v_pk_fma_f32 v[44:45], v[44:45], v[54:55], v[66:67] op_sel:[0,0,1] op_sel_hi:[1,0,0] neg_lo:[1,0,0] neg_hi:[1,0,0]
	v_pk_fma_f32 v[66:67], v[20:21], v[6:7], v[14:15] neg_lo:[0,0,1] neg_hi:[0,0,1]
	v_mov_b32_e32 v65, v12
	v_mov_b32_e32 v36, v57
	v_pk_fma_f32 v[56:57], v[4:5], v[24:25], v[58:59] op_sel:[0,0,1] op_sel_hi:[1,1,0]
	v_pk_fma_f32 v[2:3], v[4:5], v[2:3], v[58:59] op_sel:[0,1,1] op_sel_hi:[1,1,0] neg_lo:[1,0,0] neg_hi:[1,0,0]
	v_pk_mul_f32 v[58:59], v[62:63], v[10:11]
	v_pk_fma_f32 v[10:11], v[6:7], v[10:11], v[22:23] neg_lo:[0,0,1] neg_hi:[0,0,1]
	v_mul_f32_e32 v67, v35, v12
	v_mov_b32_e32 v12, v17
	v_mov_b32_e32 v60, v6
	;; [unrolled: 1-line block ×3, first 2 shown]
	v_fma_f32 v50, v40, v16, -v50
	v_pk_fma_f32 v[70:71], v[42:43], v[16:17], v[36:37] neg_lo:[0,0,1] neg_hi:[0,0,1]
	v_mov_b32_e32 v57, v3
	v_mov_b32_e32 v69, v45
	;; [unrolled: 1-line block ×5, first 2 shown]
	v_pk_mul_f32 v[40:41], v[12:13], v[40:41]
	v_pk_fma_f32 v[22:23], v[6:7], v[46:47], v[58:59]
	v_pk_fma_f32 v[46:47], v[60:61], v[46:47], v[58:59] neg_lo:[0,0,1] neg_hi:[0,0,1]
	v_pk_add_f32 v[44:45], v[56:57], v[68:69]
	v_pk_add_f32 v[56:57], v[56:57], v[68:69] neg_lo:[0,1] neg_hi:[0,1]
	v_pk_add_f32 v[14:15], v[36:37], v[14:15]
	v_mov_b32_e32 v37, v10
	v_pk_add_f32 v[10:11], v[10:11], v[50:51]
	v_pk_fma_f32 v[68:69], v[16:17], v[48:49], v[40:41]
	v_pk_fma_f32 v[40:41], v[64:65], v[48:49], v[40:41] neg_lo:[0,0,1] neg_hi:[0,0,1]
	v_mov_b32_e32 v3, v50
	v_mov_b32_e32 v23, v47
	;; [unrolled: 1-line block ×5, first 2 shown]
	v_pk_add_f32 v[2:3], v[36:37], v[2:3] neg_lo:[0,1] neg_hi:[0,1]
	v_pk_add_f32 v[36:37], v[22:23], v[68:69]
	v_mov_b32_e32 v40, v41
	v_mov_b32_e32 v41, v36
	;; [unrolled: 1-line block ×4, first 2 shown]
	v_pk_add_f32 v[72:73], v[10:11], v[14:15]
	v_pk_add_f32 v[40:41], v[40:41], v[46:47]
	v_mov_b32_e32 v11, v73
	v_mov_b32_e32 v46, v40
	;; [unrolled: 1-line block ×5, first 2 shown]
	v_pk_add_f32 v[46:47], v[46:47], v[10:11] neg_lo:[0,1] neg_hi:[0,1]
	v_pk_add_f32 v[74:75], v[14:15], v[74:75] neg_lo:[0,1] neg_hi:[0,1]
	v_pk_add_f32 v[40:41], v[72:73], v[40:41]
	ds_read_b64 v[72:73], v131 offset:4056
	v_pk_mul_f32 v[46:47], v[46:47], s[20:21]
	v_pk_mul_f32 v[78:79], v[74:75], s[22:23]
	v_mov_b32_e32 v11, v36
	v_mov_b32_e32 v15, v44
	s_waitcnt lgkmcnt(1)
	v_pk_add_f32 v[76:77], v[40:41], v[76:77]
	v_pk_fma_f32 v[74:75], v[74:75], s[22:23], v[46:47]
	v_pk_add_f32 v[10:11], v[10:11], v[14:15] neg_lo:[0,1] neg_hi:[0,1]
	v_mov_b32_e32 v14, v78
	v_mov_b32_e32 v15, v47
	;; [unrolled: 1-line block ×3, first 2 shown]
	v_pk_add_f32 v[22:23], v[22:23], v[68:69] neg_lo:[0,1] neg_hi:[0,1]
	v_pk_fma_f32 v[40:41], v[40:41], s[18:19], v[76:77] op_sel_hi:[1,0,1] neg_lo:[1,0,0] neg_hi:[1,0,0]
	v_pk_fma_f32 v[14:15], v[10:11], s[16:17], v[14:15] op_sel_hi:[1,0,1] neg_lo:[1,0,1] neg_hi:[1,0,1]
	;; [unrolled: 1-line block ×3, first 2 shown]
	v_mov_b32_e32 v50, v56
	v_mov_b32_e32 v59, v57
	;; [unrolled: 1-line block ×4, first 2 shown]
	v_pk_add_f32 v[74:75], v[74:75], v[40:41]
	v_pk_add_f32 v[14:15], v[14:15], v[40:41]
	;; [unrolled: 1-line block ×3, first 2 shown]
	v_mov_b32_e32 v40, v21
	v_mov_b32_e32 v41, v38
	;; [unrolled: 1-line block ×5, first 2 shown]
	v_mul_f32_e32 v83, v34, v13
	v_pk_add_f32 v[48:49], v[58:59], v[22:23] neg_lo:[0,1] neg_hi:[0,1]
	v_pk_add_f32 v[50:51], v[50:51], v[2:3] neg_lo:[0,1] neg_hi:[0,1]
	v_pk_mul_f32 v[20:21], v[20:21], v[62:63]
	v_mov_b32_e32 v39, v34
	v_pk_mul_f32 v[12:13], v[42:43], v[12:13]
	v_pk_mul_f32 v[48:49], v[48:49], s[12:13]
	;; [unrolled: 1-line block ×3, first 2 shown]
	v_pk_add_f32 v[68:69], v[22:23], v[2:3]
	v_mov_b32_e32 v23, v3
	v_pk_fma_f32 v[6:7], v[40:41], v[6:7], v[20:21]
	v_pk_fma_f32 v[20:21], v[40:41], v[60:61], v[20:21] neg_lo:[0,0,1] neg_hi:[0,0,1]
	v_pk_fma_f32 v[16:17], v[38:39], v[16:17], v[12:13]
	v_pk_fma_f32 v[12:13], v[38:39], v[64:65], v[12:13] neg_lo:[0,0,1] neg_hi:[0,0,1]
	v_pk_add_f32 v[68:69], v[68:69], v[56:57]
	v_pk_fma_f32 v[50:51], v[50:51], s[4:5], v[48:49]
	v_pk_add_f32 v[2:3], v[22:23], v[56:57] neg_lo:[0,1] neg_hi:[0,1]
	v_mov_b32_e32 v22, v58
	v_mov_b32_e32 v23, v49
	;; [unrolled: 1-line block ×5, first 2 shown]
	v_pk_fma_f32 v[50:51], v[68:69], s[10:11], v[50:51] op_sel_hi:[1,0,1]
	v_pk_fma_f32 v[22:23], v[2:3], s[14:15], v[22:23] op_sel_hi:[1,0,1] neg_lo:[1,0,1] neg_hi:[1,0,1]
	v_pk_fma_f32 v[2:3], v[2:3], s[14:15], v[48:49] op_sel_hi:[1,0,1] neg_lo:[0,0,1] neg_hi:[0,0,1]
	s_waitcnt lgkmcnt(0)
	v_pk_mul_f32 v[18:19], v[72:73], v[18:19] op_sel_hi:[1,0]
	v_pk_add_f32 v[38:39], v[6:7], v[16:17]
	v_pk_add_f32 v[6:7], v[6:7], v[16:17] neg_lo:[0,1] neg_hi:[0,1]
	v_pk_mul_f32 v[16:17], v[8:9], v[4:5] op_sel_hi:[1,0]
	v_pk_add_f32 v[80:81], v[74:75], v[50:51]
	v_pk_add_f32 v[50:51], v[74:75], v[50:51] neg_lo:[0,1] neg_hi:[0,1]
	v_pk_fma_f32 v[22:23], v[68:69], s[10:11], v[22:23] op_sel_hi:[1,0,1]
	v_pk_fma_f32 v[2:3], v[68:69], s[10:11], v[2:3] op_sel_hi:[1,0,1]
	v_pk_fma_f32 v[34:35], v[72:73], v[52:53], v[18:19] op_sel:[0,0,1] op_sel_hi:[1,1,0]
	v_pk_fma_f32 v[18:19], v[72:73], v[54:55], v[18:19] op_sel:[0,0,1] op_sel_hi:[1,0,0] neg_lo:[1,0,0] neg_hi:[1,0,0]
	v_pk_fma_f32 v[40:41], v[8:9], v[4:5], v[16:17] op_sel:[0,1,1] op_sel_hi:[1,1,0]
	v_pk_fma_f32 v[4:5], v[8:9], v[4:5], v[16:17] op_sel:[0,1,1] op_sel_hi:[1,1,0] neg_lo:[1,0,0] neg_hi:[1,0,0]
	v_pk_add_f32 v[36:37], v[14:15], v[22:23]
	v_pk_add_f32 v[14:15], v[14:15], v[22:23] neg_lo:[0,1] neg_hi:[0,1]
	v_pk_add_f32 v[22:23], v[10:11], v[2:3] neg_lo:[0,1] neg_hi:[0,1]
	v_pk_add_f32 v[2:3], v[10:11], v[2:3]
	v_mov_b32_e32 v71, v83
	v_mov_b32_e32 v35, v19
	;; [unrolled: 1-line block ×7, first 2 shown]
	v_pk_add_f32 v[10:11], v[66:67], v[70:71]
	v_pk_add_f32 v[8:9], v[40:41], v[34:35]
	;; [unrolled: 1-line block ×3, first 2 shown]
	s_barrier
	ds_write2_b64 v131, v[76:77], v[44:45] offset1:39
	v_mov_b32_e32 v45, v15
	v_mov_b32_e32 v47, v3
	;; [unrolled: 1-line block ×8, first 2 shown]
	ds_write2_b64 v131, v[2:3], v[14:15] offset0:156 offset1:195
	v_mov_b32_e32 v2, v13
	v_mov_b32_e32 v3, v38
	;; [unrolled: 1-line block ×4, first 2 shown]
	v_pk_add_f32 v[16:17], v[40:41], v[34:35] neg_lo:[0,1] neg_hi:[0,1]
	v_pk_add_f32 v[18:19], v[18:19], v[24:25] neg_lo:[0,1] neg_hi:[0,1]
	v_pk_add_f32 v[2:3], v[2:3], v[12:13]
	v_pk_add_f32 v[12:13], v[10:11], v[4:5]
	v_mov_b32_e32 v24, v16
	v_mov_b32_e32 v25, v7
	;; [unrolled: 1-line block ×10, first 2 shown]
	v_pk_add_f32 v[24:25], v[24:25], v[18:19] neg_lo:[0,1] neg_hi:[0,1]
	v_pk_add_f32 v[40:41], v[40:41], v[6:7] neg_lo:[0,1] neg_hi:[0,1]
	;; [unrolled: 1-line block ×4, first 2 shown]
	v_pk_mul_f32 v[34:35], v[24:25], s[4:5]
	v_pk_mul_f32 v[40:41], v[40:41], s[12:13]
	v_pk_add_f32 v[42:43], v[6:7], v[18:19]
	v_pk_add_f32 v[2:3], v[12:13], v[2:3]
	v_pk_mul_f32 v[12:13], v[14:15], s[22:23]
	v_pk_mul_f32 v[20:21], v[20:21], s[20:21]
	v_mov_b32_e32 v7, v19
	v_mov_b32_e32 v11, v38
	;; [unrolled: 1-line block ×3, first 2 shown]
	v_pk_add_f32 v[0:1], v[2:3], v[0:1]
	v_pk_add_f32 v[6:7], v[6:7], v[16:17] neg_lo:[0,1] neg_hi:[0,1]
	v_pk_add_f32 v[4:5], v[10:11], v[4:5] neg_lo:[0,1] neg_hi:[0,1]
	v_mov_b32_e32 v8, v12
	v_mov_b32_e32 v9, v21
	;; [unrolled: 1-line block ×4, first 2 shown]
	v_pk_add_f32 v[42:43], v[42:43], v[16:17]
	v_mov_b32_e32 v46, v22
	v_pk_fma_f32 v[2:3], v[2:3], s[18:19], v[0:1] op_sel_hi:[1,0,1] neg_lo:[1,0,0] neg_hi:[1,0,0]
	v_pk_fma_f32 v[14:15], v[14:15], s[22:23], v[20:21]
	v_pk_fma_f32 v[22:23], v[24:25], s[4:5], v[40:41]
	v_pk_fma_f32 v[8:9], v[4:5], s[16:17], v[8:9] op_sel_hi:[1,0,1] neg_lo:[1,0,1] neg_hi:[1,0,1]
	v_pk_fma_f32 v[10:11], v[6:7], s[14:15], v[10:11] op_sel_hi:[1,0,1] neg_lo:[1,0,1] neg_hi:[1,0,1]
	v_pk_add_f32 v[14:15], v[14:15], v[2:3]
	v_pk_fma_f32 v[22:23], v[42:43], s[10:11], v[22:23] op_sel_hi:[1,0,1]
	v_pk_add_f32 v[8:9], v[8:9], v[2:3]
	v_pk_fma_f32 v[10:11], v[42:43], s[10:11], v[10:11] op_sel_hi:[1,0,1]
	v_mov_b32_e32 v51, v81
	v_pk_add_f32 v[24:25], v[14:15], v[22:23]
	v_pk_add_f32 v[14:15], v[14:15], v[22:23] neg_lo:[0,1] neg_hi:[0,1]
	v_add_u32_e32 v52, 0x400, v131
	v_pk_add_f32 v[16:17], v[8:9], v[10:11]
	v_pk_add_f32 v[8:9], v[8:9], v[10:11] neg_lo:[0,1] neg_hi:[0,1]
	ds_write2_b64 v52, v[50:51], v[0:1] offset0:106 offset1:145
	v_mov_b32_e32 v0, v24
	v_mov_b32_e32 v1, v15
	;; [unrolled: 1-line block ×6, first 2 shown]
	ds_write2_b64 v82, v[0:1], v[10:11] offset0:56 offset1:95
	v_pk_fma_f32 v[0:1], v[4:5], s[16:17], v[20:21] op_sel_hi:[1,0,1] neg_lo:[0,0,1] neg_hi:[0,0,1]
	v_pk_fma_f32 v[4:5], v[6:7], s[14:15], v[40:41] op_sel_hi:[1,0,1] neg_lo:[0,0,1] neg_hi:[0,0,1]
	v_pk_add_f32 v[0:1], v[0:1], v[2:3]
	v_pk_fma_f32 v[2:3], v[42:43], s[10:11], v[4:5] op_sel_hi:[1,0,1]
	v_mov_b32_e32 v44, v36
	v_pk_add_f32 v[4:5], v[0:1], v[2:3] neg_lo:[0,1] neg_hi:[0,1]
	v_pk_add_f32 v[0:1], v[0:1], v[2:3]
	v_mov_b32_e32 v2, v4
	v_mov_b32_e32 v3, v1
	;; [unrolled: 1-line block ×3, first 2 shown]
	ds_write2_b64 v82, v[2:3], v[0:1] offset0:134 offset1:173
	v_mov_b32_e32 v9, v17
	v_mov_b32_e32 v15, v25
	v_lshl_add_u64 v[0:1], v[32:33], 3, s[8:9]
	ds_write2_b64 v131, v[44:45], v[46:47] offset0:78 offset1:117
	ds_write2_b64 v82, v[8:9], v[14:15] offset0:212 offset1:251
	s_waitcnt lgkmcnt(0)
	s_barrier
	global_load_dwordx2 v[24:25], v[0:1], off offset:2080
	v_lshl_add_u64 v[0:1], v[30:31], 3, s[8:9]
	global_load_dwordx2 v[32:33], v[0:1], off offset:2392
	global_load_dwordx2 v[34:35], v[0:1], off offset:2704
	;; [unrolled: 1-line block ×6, first 2 shown]
	ds_read2_b64 v[0:3], v82 offset0:17 offset1:56
	ds_read2_b64 v[4:7], v131 offset0:39 offset1:78
	;; [unrolled: 1-line block ×6, first 2 shown]
	ds_read_b64 v[46:47], v130
	v_lshl_add_u32 v31, v128, 3, v132
	s_waitcnt vmcnt(6) lgkmcnt(6)
	v_pk_mul_f32 v[44:45], v[24:25], v[0:1] op_sel:[0,1]
	s_nop 0
	v_pk_fma_f32 v[48:49], v[24:25], v[0:1], v[44:45] op_sel:[0,0,1] op_sel_hi:[1,1,0] neg_lo:[0,0,1] neg_hi:[0,0,1]
	v_pk_fma_f32 v[0:1], v[24:25], v[0:1], v[44:45] op_sel:[0,0,1] op_sel_hi:[1,0,0]
	s_nop 0
	v_mov_b32_e32 v49, v1
	ds_read_b64 v[0:1], v131 offset:4056
	s_waitcnt lgkmcnt(1)
	v_pk_add_f32 v[24:25], v[46:47], v[48:49] neg_lo:[0,1] neg_hi:[0,1]
	s_waitcnt lgkmcnt(0)
	v_pk_fma_f32 v[44:45], v[46:47], 2.0, v[24:25] op_sel_hi:[1,0,1] neg_lo:[0,0,1] neg_hi:[0,0,1]
	s_waitcnt vmcnt(5)
	v_pk_mul_f32 v[46:47], v[32:33], v[2:3] op_sel:[0,1]
	s_barrier
	v_pk_fma_f32 v[48:49], v[32:33], v[2:3], v[46:47] op_sel:[0,0,1] op_sel_hi:[1,1,0] neg_lo:[0,0,1] neg_hi:[0,0,1]
	v_pk_fma_f32 v[2:3], v[32:33], v[2:3], v[46:47] op_sel:[0,0,1] op_sel_hi:[1,0,0]
	s_waitcnt vmcnt(4)
	v_pk_mul_f32 v[32:33], v[34:35], v[8:9] op_sel:[0,1]
	v_mov_b32_e32 v49, v3
	v_pk_fma_f32 v[46:47], v[34:35], v[8:9], v[32:33] op_sel:[0,0,1] op_sel_hi:[1,1,0] neg_lo:[0,0,1] neg_hi:[0,0,1]
	v_pk_fma_f32 v[8:9], v[34:35], v[8:9], v[32:33] op_sel:[0,0,1] op_sel_hi:[1,0,0]
	s_waitcnt vmcnt(3)
	v_pk_mul_f32 v[32:33], v[36:37], v[10:11] op_sel:[0,1]
	v_pk_add_f32 v[2:3], v[4:5], v[48:49] neg_lo:[0,1] neg_hi:[0,1]
	v_pk_fma_f32 v[34:35], v[36:37], v[10:11], v[32:33] op_sel:[0,0,1] op_sel_hi:[1,1,0] neg_lo:[0,0,1] neg_hi:[0,0,1]
	v_pk_fma_f32 v[10:11], v[36:37], v[10:11], v[32:33] op_sel:[0,0,1] op_sel_hi:[1,0,0]
	s_waitcnt vmcnt(1)
	v_pk_mul_f32 v[32:33], v[40:41], v[16:17] op_sel:[0,1]
	v_mov_b32_e32 v35, v11
	v_pk_add_f32 v[10:11], v[12:13], v[34:35] neg_lo:[0,1] neg_hi:[0,1]
	v_pk_fma_f32 v[34:35], v[40:41], v[16:17], v[32:33] op_sel:[0,0,1] op_sel_hi:[1,1,0] neg_lo:[0,0,1] neg_hi:[0,0,1]
	v_pk_fma_f32 v[16:17], v[40:41], v[16:17], v[32:33] op_sel:[0,0,1] op_sel_hi:[1,0,0]
	s_waitcnt vmcnt(0)
	v_pk_mul_f32 v[32:33], v[18:19], v[42:43] op_sel:[0,1]
	v_mov_b32_e32 v35, v17
	v_pk_add_f32 v[16:17], v[14:15], v[34:35] neg_lo:[0,1] neg_hi:[0,1]
	v_pk_fma_f32 v[34:35], v[18:19], v[42:43], v[32:33] op_sel:[0,0,1] op_sel_hi:[1,1,0] neg_lo:[0,0,1] neg_hi:[0,0,1]
	v_pk_fma_f32 v[18:19], v[18:19], v[42:43], v[32:33] op_sel:[0,0,1] op_sel_hi:[1,0,0]
	v_pk_mul_f32 v[32:33], v[0:1], v[38:39] op_sel:[0,1]
	v_mov_b32_e32 v35, v19
	v_pk_add_f32 v[18:19], v[20:21], v[34:35] neg_lo:[0,1] neg_hi:[0,1]
	v_pk_fma_f32 v[34:35], v[0:1], v[38:39], v[32:33] op_sel:[0,0,1] op_sel_hi:[1,1,0] neg_lo:[0,0,1] neg_hi:[0,0,1]
	v_pk_fma_f32 v[0:1], v[0:1], v[38:39], v[32:33] op_sel:[0,0,1] op_sel_hi:[1,0,0]
	v_pk_fma_f32 v[4:5], v[4:5], 2.0, v[2:3] op_sel_hi:[1,0,1] neg_lo:[0,0,1] neg_hi:[0,0,1]
	v_mov_b32_e32 v47, v9
	v_mov_b32_e32 v35, v1
	v_pk_add_f32 v[8:9], v[6:7], v[46:47] neg_lo:[0,1] neg_hi:[0,1]
	v_pk_add_f32 v[0:1], v[22:23], v[34:35] neg_lo:[0,1] neg_hi:[0,1]
	ds_write2_b64 v131, v[44:45], v[4:5] offset1:39
	v_add_u32_e32 v4, 0x800, v31
	v_pk_fma_f32 v[6:7], v[6:7], 2.0, v[8:9] op_sel_hi:[1,0,1] neg_lo:[0,0,1] neg_hi:[0,0,1]
	v_pk_fma_f32 v[12:13], v[12:13], 2.0, v[10:11] op_sel_hi:[1,0,1] neg_lo:[0,0,1] neg_hi:[0,0,1]
	;; [unrolled: 1-line block ×5, first 2 shown]
	ds_write2_b64 v4, v[2:3], v[8:9] offset0:56 offset1:95
	ds_write2_b64 v131, v[6:7], v[12:13] offset0:78 offset1:117
	;; [unrolled: 1-line block ×6, first 2 shown]
	s_waitcnt lgkmcnt(0)
	s_barrier
	s_and_saveexec_b64 s[4:5], s[0:1]
	s_cbranch_execz .LBB0_26
; %bb.25:
	v_mul_lo_u32 v0, s3, v28
	v_mul_lo_u32 v1, s2, v29
	v_mad_u64_u32 v[4:5], s[0:1], s2, v28, 0
	v_lshl_add_u32 v10, v30, 3, v129
	v_add3_u32 v5, v5, v1, v0
	ds_read2_b64 v[0:3], v10 offset1:39
	v_lshl_add_u64 v[4:5], v[4:5], 3, s[6:7]
	v_mov_b32_e32 v31, 0
	v_lshl_add_u64 v[8:9], v[26:27], 3, v[4:5]
	v_lshl_add_u64 v[4:5], v[30:31], 3, v[8:9]
	s_waitcnt lgkmcnt(0)
	global_store_dwordx2 v[4:5], v[0:1], off
	ds_read2_b64 v[4:7], v10 offset0:78 offset1:117
	v_add_u32_e32 v0, 39, v30
	v_mov_b32_e32 v1, v31
	v_lshl_add_u64 v[0:1], v[0:1], 3, v[8:9]
	global_store_dwordx2 v[0:1], v[2:3], off
	v_add_u32_e32 v0, 0x4e, v30
	v_mov_b32_e32 v1, v31
	v_lshl_add_u64 v[0:1], v[0:1], 3, v[8:9]
	s_waitcnt lgkmcnt(0)
	global_store_dwordx2 v[0:1], v[4:5], off
	v_add_u32_e32 v0, 0x75, v30
	v_mov_b32_e32 v1, v31
	v_lshl_add_u64 v[4:5], v[0:1], 3, v[8:9]
	ds_read2_b64 v[0:3], v10 offset0:156 offset1:195
	global_store_dwordx2 v[4:5], v[6:7], off
	v_add_u32_e32 v4, 0x9c, v30
	v_mov_b32_e32 v5, v31
	v_lshl_add_u64 v[4:5], v[4:5], 3, v[8:9]
	s_waitcnt lgkmcnt(0)
	global_store_dwordx2 v[4:5], v[0:1], off
	v_add_u32_e32 v4, 0x400, v10
	ds_read2_b64 v[4:7], v4 offset0:106 offset1:145
	v_add_u32_e32 v0, 0xc3, v30
	v_mov_b32_e32 v1, v31
	v_lshl_add_u64 v[0:1], v[0:1], 3, v[8:9]
	global_store_dwordx2 v[0:1], v[2:3], off
	v_add_u32_e32 v0, 0xea, v30
	v_mov_b32_e32 v1, v31
	v_lshl_add_u64 v[0:1], v[0:1], 3, v[8:9]
	s_waitcnt lgkmcnt(0)
	global_store_dwordx2 v[0:1], v[4:5], off
	v_add_u32_e32 v0, 0x111, v30
	v_mov_b32_e32 v1, v31
	v_add_u32_e32 v10, 0x800, v10
	v_lshl_add_u64 v[4:5], v[0:1], 3, v[8:9]
	ds_read2_b64 v[0:3], v10 offset0:56 offset1:95
	global_store_dwordx2 v[4:5], v[6:7], off
	v_add_u32_e32 v4, 0x138, v30
	v_mov_b32_e32 v5, v31
	v_lshl_add_u64 v[4:5], v[4:5], 3, v[8:9]
	s_waitcnt lgkmcnt(0)
	global_store_dwordx2 v[4:5], v[0:1], off
	ds_read2_b64 v[4:7], v10 offset0:134 offset1:173
	v_add_u32_e32 v0, 0x15f, v30
	v_mov_b32_e32 v1, v31
	v_lshl_add_u64 v[0:1], v[0:1], 3, v[8:9]
	global_store_dwordx2 v[0:1], v[2:3], off
	v_add_u32_e32 v0, 0x186, v30
	v_mov_b32_e32 v1, v31
	v_lshl_add_u64 v[0:1], v[0:1], 3, v[8:9]
	s_waitcnt lgkmcnt(0)
	global_store_dwordx2 v[0:1], v[4:5], off
	v_add_u32_e32 v0, 0x1ad, v30
	v_mov_b32_e32 v1, v31
	v_lshl_add_u64 v[4:5], v[0:1], 3, v[8:9]
	ds_read2_b64 v[0:3], v10 offset0:212 offset1:251
	global_store_dwordx2 v[4:5], v[6:7], off
	v_add_u32_e32 v4, 0x1d4, v30
	v_mov_b32_e32 v5, v31
	v_lshl_add_u64 v[4:5], v[4:5], 3, v[8:9]
	v_add_u32_e32 v30, 0x1fb, v30
	s_waitcnt lgkmcnt(0)
	global_store_dwordx2 v[4:5], v[0:1], off
	v_lshl_add_u64 v[0:1], v[30:31], 3, v[8:9]
	global_store_dwordx2 v[0:1], v[2:3], off
.LBB0_26:
	s_endpgm
	.section	.rodata,"a",@progbits
	.p2align	6, 0x0
	.amdhsa_kernel fft_rtc_fwd_len546_factors_13_3_7_2_wgs_117_tpt_39_halfLds_sp_op_CI_CI_unitstride_sbrr_C2R_dirReg
		.amdhsa_group_segment_fixed_size 0
		.amdhsa_private_segment_fixed_size 0
		.amdhsa_kernarg_size 104
		.amdhsa_user_sgpr_count 2
		.amdhsa_user_sgpr_dispatch_ptr 0
		.amdhsa_user_sgpr_queue_ptr 0
		.amdhsa_user_sgpr_kernarg_segment_ptr 1
		.amdhsa_user_sgpr_dispatch_id 0
		.amdhsa_user_sgpr_kernarg_preload_length 0
		.amdhsa_user_sgpr_kernarg_preload_offset 0
		.amdhsa_user_sgpr_private_segment_size 0
		.amdhsa_uses_dynamic_stack 0
		.amdhsa_enable_private_segment 0
		.amdhsa_system_sgpr_workgroup_id_x 1
		.amdhsa_system_sgpr_workgroup_id_y 0
		.amdhsa_system_sgpr_workgroup_id_z 0
		.amdhsa_system_sgpr_workgroup_info 0
		.amdhsa_system_vgpr_workitem_id 0
		.amdhsa_next_free_vgpr 196
		.amdhsa_next_free_sgpr 54
		.amdhsa_accum_offset 196
		.amdhsa_reserve_vcc 1
		.amdhsa_float_round_mode_32 0
		.amdhsa_float_round_mode_16_64 0
		.amdhsa_float_denorm_mode_32 3
		.amdhsa_float_denorm_mode_16_64 3
		.amdhsa_dx10_clamp 1
		.amdhsa_ieee_mode 1
		.amdhsa_fp16_overflow 0
		.amdhsa_tg_split 0
		.amdhsa_exception_fp_ieee_invalid_op 0
		.amdhsa_exception_fp_denorm_src 0
		.amdhsa_exception_fp_ieee_div_zero 0
		.amdhsa_exception_fp_ieee_overflow 0
		.amdhsa_exception_fp_ieee_underflow 0
		.amdhsa_exception_fp_ieee_inexact 0
		.amdhsa_exception_int_div_zero 0
	.end_amdhsa_kernel
	.text
.Lfunc_end0:
	.size	fft_rtc_fwd_len546_factors_13_3_7_2_wgs_117_tpt_39_halfLds_sp_op_CI_CI_unitstride_sbrr_C2R_dirReg, .Lfunc_end0-fft_rtc_fwd_len546_factors_13_3_7_2_wgs_117_tpt_39_halfLds_sp_op_CI_CI_unitstride_sbrr_C2R_dirReg
                                        ; -- End function
	.section	.AMDGPU.csdata,"",@progbits
; Kernel info:
; codeLenInByte = 11968
; NumSgprs: 60
; NumVgprs: 196
; NumAgprs: 0
; TotalNumVgprs: 196
; ScratchSize: 0
; MemoryBound: 0
; FloatMode: 240
; IeeeMode: 1
; LDSByteSize: 0 bytes/workgroup (compile time only)
; SGPRBlocks: 7
; VGPRBlocks: 24
; NumSGPRsForWavesPerEU: 60
; NumVGPRsForWavesPerEU: 196
; AccumOffset: 196
; Occupancy: 2
; WaveLimiterHint : 1
; COMPUTE_PGM_RSRC2:SCRATCH_EN: 0
; COMPUTE_PGM_RSRC2:USER_SGPR: 2
; COMPUTE_PGM_RSRC2:TRAP_HANDLER: 0
; COMPUTE_PGM_RSRC2:TGID_X_EN: 1
; COMPUTE_PGM_RSRC2:TGID_Y_EN: 0
; COMPUTE_PGM_RSRC2:TGID_Z_EN: 0
; COMPUTE_PGM_RSRC2:TIDIG_COMP_CNT: 0
; COMPUTE_PGM_RSRC3_GFX90A:ACCUM_OFFSET: 48
; COMPUTE_PGM_RSRC3_GFX90A:TG_SPLIT: 0
	.text
	.p2alignl 6, 3212836864
	.fill 256, 4, 3212836864
	.type	__hip_cuid_f5906e2a9a562e55,@object ; @__hip_cuid_f5906e2a9a562e55
	.section	.bss,"aw",@nobits
	.globl	__hip_cuid_f5906e2a9a562e55
__hip_cuid_f5906e2a9a562e55:
	.byte	0                               ; 0x0
	.size	__hip_cuid_f5906e2a9a562e55, 1

	.ident	"AMD clang version 19.0.0git (https://github.com/RadeonOpenCompute/llvm-project roc-6.4.0 25133 c7fe45cf4b819c5991fe208aaa96edf142730f1d)"
	.section	".note.GNU-stack","",@progbits
	.addrsig
	.addrsig_sym __hip_cuid_f5906e2a9a562e55
	.amdgpu_metadata
---
amdhsa.kernels:
  - .agpr_count:     0
    .args:
      - .actual_access:  read_only
        .address_space:  global
        .offset:         0
        .size:           8
        .value_kind:     global_buffer
      - .offset:         8
        .size:           8
        .value_kind:     by_value
      - .actual_access:  read_only
        .address_space:  global
        .offset:         16
        .size:           8
        .value_kind:     global_buffer
      - .actual_access:  read_only
        .address_space:  global
        .offset:         24
        .size:           8
        .value_kind:     global_buffer
      - .actual_access:  read_only
        .address_space:  global
        .offset:         32
        .size:           8
        .value_kind:     global_buffer
      - .offset:         40
        .size:           8
        .value_kind:     by_value
      - .actual_access:  read_only
        .address_space:  global
        .offset:         48
        .size:           8
        .value_kind:     global_buffer
      - .actual_access:  read_only
        .address_space:  global
        .offset:         56
        .size:           8
        .value_kind:     global_buffer
      - .offset:         64
        .size:           4
        .value_kind:     by_value
      - .actual_access:  read_only
        .address_space:  global
        .offset:         72
        .size:           8
        .value_kind:     global_buffer
      - .actual_access:  read_only
        .address_space:  global
        .offset:         80
        .size:           8
        .value_kind:     global_buffer
      - .actual_access:  read_only
        .address_space:  global
        .offset:         88
        .size:           8
        .value_kind:     global_buffer
      - .actual_access:  write_only
        .address_space:  global
        .offset:         96
        .size:           8
        .value_kind:     global_buffer
    .group_segment_fixed_size: 0
    .kernarg_segment_align: 8
    .kernarg_segment_size: 104
    .language:       OpenCL C
    .language_version:
      - 2
      - 0
    .max_flat_workgroup_size: 117
    .name:           fft_rtc_fwd_len546_factors_13_3_7_2_wgs_117_tpt_39_halfLds_sp_op_CI_CI_unitstride_sbrr_C2R_dirReg
    .private_segment_fixed_size: 0
    .sgpr_count:     60
    .sgpr_spill_count: 0
    .symbol:         fft_rtc_fwd_len546_factors_13_3_7_2_wgs_117_tpt_39_halfLds_sp_op_CI_CI_unitstride_sbrr_C2R_dirReg.kd
    .uniform_work_group_size: 1
    .uses_dynamic_stack: false
    .vgpr_count:     196
    .vgpr_spill_count: 0
    .wavefront_size: 64
amdhsa.target:   amdgcn-amd-amdhsa--gfx950
amdhsa.version:
  - 1
  - 2
...

	.end_amdgpu_metadata
